;; amdgpu-corpus repo=ROCm/rocFFT kind=compiled arch=gfx1201 opt=O3
	.text
	.amdgcn_target "amdgcn-amd-amdhsa--gfx1201"
	.amdhsa_code_object_version 6
	.protected	bluestein_single_back_len99_dim1_half_op_CI_CI ; -- Begin function bluestein_single_back_len99_dim1_half_op_CI_CI
	.globl	bluestein_single_back_len99_dim1_half_op_CI_CI
	.p2align	8
	.type	bluestein_single_back_len99_dim1_half_op_CI_CI,@function
bluestein_single_back_len99_dim1_half_op_CI_CI: ; @bluestein_single_back_len99_dim1_half_op_CI_CI
; %bb.0:
	s_load_b128 s[16:19], s[0:1], 0x28
	v_mul_u32_u24_e32 v1, 0x1746, v0
	s_mov_b32 s2, exec_lo
	s_delay_alu instid0(VALU_DEP_1) | instskip(NEXT) | instid1(VALU_DEP_1)
	v_lshrrev_b32_e32 v1, 16, v1
	v_mad_co_u64_u32 v[8:9], null, ttmp9, 20, v[1:2]
	v_mov_b32_e32 v9, 0
                                        ; kill: def $vgpr2 killed $sgpr0 killed $exec
	s_wait_kmcnt 0x0
	s_delay_alu instid0(VALU_DEP_1)
	v_cmpx_gt_u64_e64 s[16:17], v[8:9]
	s_cbranch_execz .LBB0_10
; %bb.1:
	s_clause 0x1
	s_load_b128 s[4:7], s[0:1], 0x18
	s_load_b128 s[8:11], s[0:1], 0x0
	v_mul_lo_u16 v1, v1, 11
                                        ; implicit-def: $vgpr99
                                        ; implicit-def: $vgpr98
                                        ; implicit-def: $vgpr100
	s_delay_alu instid0(VALU_DEP_1) | instskip(NEXT) | instid1(VALU_DEP_1)
	v_sub_nc_u16 v0, v0, v1
	v_and_b32_e32 v41, 0xffff, v0
	s_wait_kmcnt 0x0
	s_load_b128 s[12:15], s[4:5], 0x0
	s_wait_kmcnt 0x0
	v_mad_co_u64_u32 v[1:2], null, s14, v8, 0
	v_mad_co_u64_u32 v[3:4], null, s12, v41, 0
	s_mul_u64 s[2:3], s[12:13], 0x84
	s_mul_i32 s4, s13, 0xffffff24
	s_delay_alu instid0(SALU_CYCLE_1) | instskip(NEXT) | instid1(VALU_DEP_1)
	s_sub_co_i32 s4, s4, s12
	v_mad_co_u64_u32 v[5:6], null, s15, v8, v[2:3]
	s_delay_alu instid0(VALU_DEP_1) | instskip(NEXT) | instid1(VALU_DEP_3)
	v_mov_b32_e32 v2, v5
	v_mad_co_u64_u32 v[6:7], null, s13, v41, v[4:5]
	v_add_co_u32 v15, null, v41, 11
	s_delay_alu instid0(VALU_DEP_3) | instskip(SKIP_1) | instid1(VALU_DEP_3)
	v_lshlrev_b64_e32 v[1:2], 2, v[1:2]
	v_add_co_u32 v16, null, v41, 22
	v_dual_mov_b32 v4, v6 :: v_dual_and_b32 v17, 0xff, v15
	v_mul_u32_u24_e32 v20, 3, v15
	s_delay_alu instid0(VALU_DEP_4) | instskip(SKIP_1) | instid1(VALU_DEP_4)
	v_add_co_u32 v5, vcc_lo, s18, v1
	v_lshlrev_b32_e32 v1, 2, v41
	v_lshlrev_b64_e32 v[3:4], 2, v[3:4]
	v_add_co_ci_u32_e32 v6, vcc_lo, s19, v2, vcc_lo
	s_clause 0x4
	global_load_b32 v42, v1, s[8:9]
	global_load_b32 v39, v1, s[8:9] offset:44
	global_load_b32 v45, v1, s[8:9] offset:132
	;; [unrolled: 1-line block ×4, first 2 shown]
	v_add_co_u32 v2, vcc_lo, v5, v3
	s_wait_alu 0xfffd
	v_add_co_ci_u32_e32 v3, vcc_lo, v6, v4, vcc_lo
	s_clause 0x2
	global_load_b32 v44, v1, s[8:9] offset:264
	global_load_b32 v30, v1, s[8:9] offset:220
	;; [unrolled: 1-line block ×3, first 2 shown]
	v_add_co_u32 v4, vcc_lo, v2, s2
	s_wait_alu 0xfffd
	v_add_co_ci_u32_e32 v5, vcc_lo, s3, v3, vcc_lo
	global_load_b32 v11, v[2:3], off
	v_add_co_u32 v6, vcc_lo, v4, s2
	s_wait_alu 0xfffd
	v_add_co_ci_u32_e32 v7, vcc_lo, s3, v5, vcc_lo
	global_load_b32 v29, v1, s[8:9] offset:352
	s_clause 0x1
	global_load_b32 v12, v[4:5], off
	global_load_b32 v13, v[6:7], off
	v_mad_co_u64_u32 v[9:10], null, 0xffffff24, s12, v[6:7]
	v_mul_lo_u16 v17, 0xab, v17
	v_mul_u32_u24_e32 v22, 3, v16
	s_delay_alu instid0(VALU_DEP_2) | instskip(NEXT) | instid1(VALU_DEP_4)
	v_lshrrev_b16 v17, 9, v17
	v_add_nc_u32_e32 v10, s4, v10
	v_add_co_u32 v2, vcc_lo, v9, s2
	s_wait_alu 0xfffd
	s_delay_alu instid0(VALU_DEP_2) | instskip(NEXT) | instid1(VALU_DEP_2)
	v_add_co_ci_u32_e32 v3, vcc_lo, s3, v10, vcc_lo
	v_add_co_u32 v4, vcc_lo, v2, s2
	global_load_b32 v9, v[9:10], off
	s_wait_alu 0xfffd
	v_add_co_ci_u32_e32 v5, vcc_lo, s3, v3, vcc_lo
	global_load_b32 v10, v[2:3], off
	v_mad_co_u64_u32 v[6:7], null, 0xffffff24, s12, v[4:5]
	global_load_b32 v14, v[4:5], off
	v_add_nc_u32_e32 v7, s4, v7
	v_add_co_u32 v2, vcc_lo, v6, s2
	s_wait_alu 0xfffd
	s_delay_alu instid0(VALU_DEP_2) | instskip(NEXT) | instid1(VALU_DEP_2)
	v_add_co_ci_u32_e32 v3, vcc_lo, s3, v7, vcc_lo
	v_add_co_u32 v4, vcc_lo, v2, s2
	global_load_b32 v6, v[6:7], off
	s_wait_alu 0xfffd
	v_add_co_ci_u32_e32 v5, vcc_lo, s3, v3, vcc_lo
	global_load_b32 v2, v[2:3], off
	global_load_b32 v3, v[4:5], off
	v_mul_hi_u32 v4, 0xcccccccd, v8
	v_mul_lo_u16 v5, v0, 3
	v_and_b32_e32 v7, 0xff, v0
	s_load_b128 s[4:7], s[6:7], 0x0
	v_cmp_gt_u16_e32 vcc_lo, 9, v0
	s_load_b64 s[2:3], s[0:1], 0x38
	v_and_b32_e32 v18, 0xffff, v5
	v_mul_lo_u16 v5, 0xab, v7
	v_lshrrev_b32_e32 v4, 4, v4
	v_and_b32_e32 v7, 0xff, v16
	s_delay_alu instid0(VALU_DEP_3) | instskip(NEXT) | instid1(VALU_DEP_3)
	v_lshrrev_b16 v19, 9, v5
	v_mul_lo_u32 v4, v4, 20
	s_delay_alu instid0(VALU_DEP_3) | instskip(NEXT) | instid1(VALU_DEP_3)
	v_mul_lo_u16 v5, 0xab, v7
	v_mul_lo_u16 v7, v19, 3
	s_delay_alu instid0(VALU_DEP_2) | instskip(NEXT) | instid1(VALU_DEP_4)
	v_lshrrev_b16 v21, 9, v5
	v_sub_nc_u32_e32 v4, v8, v4
	s_delay_alu instid0(VALU_DEP_3) | instskip(NEXT) | instid1(VALU_DEP_3)
	v_sub_nc_u16 v23, v0, v7
	v_mul_lo_u16 v24, v21, 3
	s_delay_alu instid0(VALU_DEP_3) | instskip(NEXT) | instid1(VALU_DEP_1)
	v_mul_u32_u24_e32 v4, 0x63, v4
	v_lshlrev_b32_e32 v49, 2, v4
	v_mul_lo_u16 v4, v17, 3
	s_delay_alu instid0(VALU_DEP_2) | instskip(NEXT) | instid1(VALU_DEP_2)
	v_add_nc_u32_e32 v32, v1, v49
	v_sub_nc_u16 v15, v15, v4
	v_lshl_add_u32 v55, v20, 2, v49
	v_lshl_add_u32 v54, v22, 2, v49
	;; [unrolled: 1-line block ×3, first 2 shown]
	s_wait_loadcnt 0xf
	v_lshrrev_b32_e32 v47, 16, v45
	v_lshrrev_b32_e32 v48, 16, v42
	;; [unrolled: 1-line block ×3, first 2 shown]
	s_wait_loadcnt 0xe
	v_lshrrev_b32_e32 v40, 16, v37
	s_wait_loadcnt 0xd
	v_lshrrev_b32_e32 v38, 16, v35
	;; [unrolled: 2-line block ×6, first 2 shown]
	v_mul_f16_e32 v5, v48, v11
	s_delay_alu instid0(VALU_DEP_2) | instskip(SKIP_2) | instid1(VALU_DEP_3)
	v_mul_f16_e32 v25, v48, v4
	s_wait_loadcnt 0x7
	v_lshrrev_b32_e32 v7, 16, v12
	v_fma_f16 v4, v42, v4, -v5
	s_wait_loadcnt 0x6
	v_lshrrev_b32_e32 v5, 16, v13
	v_mul_f16_e32 v28, v46, v13
	v_fmac_f16_e32 v25, v42, v11
	v_mul_f16_e32 v27, v47, v7
	v_mul_f16_e32 v26, v47, v12
	;; [unrolled: 1-line block ×3, first 2 shown]
	v_fma_f16 v5, v44, v5, -v28
	v_pack_b32_f16 v4, v25, v4
	v_fmac_f16_e32 v27, v45, v12
	v_fma_f16 v7, v45, v7, -v26
	v_fmac_f16_e32 v11, v44, v13
	v_lshrrev_b32_e32 v31, 16, v29
	s_delay_alu instid0(VALU_DEP_3) | instskip(NEXT) | instid1(VALU_DEP_3)
	v_pack_b32_f16 v7, v27, v7
	v_pack_b32_f16 v5, v11, v5
	s_wait_loadcnt 0x5
	v_lshrrev_b32_e32 v12, 16, v9
	v_mul_f16_e32 v13, v43, v9
	s_wait_loadcnt 0x4
	v_lshrrev_b32_e32 v11, 16, v10
	v_mul_f16_e32 v26, v40, v10
	v_mul_f16_e32 v25, v43, v12
	v_fma_f16 v12, v39, v12, -v13
	s_delay_alu instid0(VALU_DEP_4) | instskip(NEXT) | instid1(VALU_DEP_4)
	v_mul_f16_e32 v13, v40, v11
	v_fma_f16 v11, v37, v11, -v26
	s_delay_alu instid0(VALU_DEP_4)
	v_fmac_f16_e32 v25, v39, v9
	s_wait_loadcnt 0x3
	v_lshrrev_b32_e32 v9, 16, v14
	v_mul_f16_e32 v26, v38, v14
	v_fmac_f16_e32 v13, v37, v10
	v_pack_b32_f16 v12, v25, v12
	s_delay_alu instid0(VALU_DEP_4) | instskip(NEXT) | instid1(VALU_DEP_4)
	v_mul_f16_e32 v25, v38, v9
	v_fma_f16 v9, v35, v9, -v26
	s_delay_alu instid0(VALU_DEP_2) | instskip(SKIP_3) | instid1(VALU_DEP_3)
	v_fmac_f16_e32 v25, v35, v14
	s_wait_loadcnt 0x2
	v_lshrrev_b32_e32 v10, 16, v6
	v_mul_f16_e32 v26, v36, v6
	v_pack_b32_f16 v9, v25, v9
	s_wait_loadcnt 0x1
	v_lshrrev_b32_e32 v14, 16, v2
	s_wait_loadcnt 0x0
	v_lshrrev_b32_e32 v28, 16, v3
	v_mul_f16_e32 v27, v36, v10
	v_fma_f16 v10, v33, v10, -v26
	v_mul_f16_e32 v26, v34, v2
	v_mul_f16_e32 v50, v34, v14
	;; [unrolled: 1-line block ×4, first 2 shown]
	v_fmac_f16_e32 v27, v33, v6
	v_fma_f16 v6, v30, v14, -v26
	v_fmac_f16_e32 v50, v30, v2
	v_fma_f16 v2, v29, v28, -v51
	v_fmac_f16_e32 v52, v29, v3
	v_pack_b32_f16 v10, v27, v10
	v_pack_b32_f16 v3, v13, v11
	;; [unrolled: 1-line block ×3, first 2 shown]
	v_lshlrev_b16 v13, 1, v15
	v_pack_b32_f16 v2, v52, v2
	ds_store_b32 v32, v7 offset:132
	ds_store_b32 v32, v5 offset:264
	ds_store_2addr_b32 v32, v4, v12 offset1:11
	ds_store_b32 v32, v10 offset:88
	ds_store_2addr_b32 v32, v3, v6 offset0:44 offset1:55
	ds_store_2addr_b32 v32, v9, v2 offset0:77 offset1:88
	global_wb scope:SCOPE_SE
	s_wait_dscnt 0x0
	s_wait_kmcnt 0x0
	s_barrier_signal -1
	s_barrier_wait -1
	global_inv scope:SCOPE_SE
	ds_load_2addr_b32 v[2:3], v32 offset1:11
	ds_load_2addr_b32 v[4:5], v32 offset0:44 offset1:55
	ds_load_2addr_b32 v[6:7], v32 offset0:66 offset1:77
	;; [unrolled: 1-line block ×3, first 2 shown]
	ds_load_b32 v14, v32 offset:352
	v_sub_nc_u16 v12, v16, v24
	v_lshlrev_b16 v11, 1, v23
	global_wb scope:SCOPE_SE
	s_wait_dscnt 0x0
	s_barrier_signal -1
	s_barrier_wait -1
	v_and_b32_e32 v16, 0xff, v12
	v_and_b32_e32 v12, 0xfe, v13
	;; [unrolled: 1-line block ×3, first 2 shown]
	global_inv scope:SCOPE_SE
	v_mad_u16 v15, v17, 9, v15
	v_lshlrev_b32_e32 v18, 3, v16
	v_lshlrev_b32_e32 v12, 2, v12
	;; [unrolled: 1-line block ×3, first 2 shown]
	v_add_co_u32 v17, s0, s8, v1
	v_pk_add_f16 v13, v3, v4
	v_pk_add_f16 v20, v4, v7
	v_pk_add_f16 v4, v4, v7 neg_lo:[0,1] neg_hi:[0,1]
	v_pk_add_f16 v24, v2, v10
	v_pk_add_f16 v25, v10, v6
	v_pk_add_f16 v10, v10, v6 neg_lo:[0,1] neg_hi:[0,1]
	;; [unrolled: 3-line block ×3, first 2 shown]
	v_pk_fma_f16 v3, v20, 0.5, v3 op_sel_hi:[1,0,1] neg_lo:[1,0,0] neg_hi:[1,0,0]
	v_pk_mul_f16 v4, 0x3aee, v4 op_sel_hi:[0,1]
	v_pk_fma_f16 v2, v25, 0.5, v2 op_sel_hi:[1,0,1] neg_lo:[1,0,0] neg_hi:[1,0,0]
	v_pk_mul_f16 v10, 0x3aee, v10 op_sel_hi:[0,1]
	;; [unrolled: 2-line block ×3, first 2 shown]
	v_pk_add_f16 v7, v13, v7
	v_pk_add_f16 v13, v22, v14
	v_pk_add_f16 v14, v3, v4 op_sel:[0,1] op_sel_hi:[1,0]
	v_pk_add_f16 v3, v3, v4 op_sel:[0,1] op_sel_hi:[1,0] neg_lo:[0,1] neg_hi:[0,1]
	v_pk_add_f16 v4, v2, v10 op_sel:[0,1] op_sel_hi:[1,0]
	v_pk_add_f16 v2, v2, v10 op_sel:[0,1] op_sel_hi:[1,0] neg_lo:[0,1] neg_hi:[0,1]
	;; [unrolled: 2-line block ×3, first 2 shown]
	v_pk_add_f16 v6, v24, v6
	v_bfi_b32 v9, 0xffff, v14, v3
	v_bfi_b32 v20, 0xffff, v4, v2
	;; [unrolled: 1-line block ×6, first 2 shown]
	ds_store_2addr_b32 v53, v6, v20 offset1:1
	ds_store_b32 v53, v2 offset:8
	ds_store_2addr_b32 v55, v7, v9 offset1:1
	ds_store_b32 v55, v3 offset:8
	ds_store_2addr_b32 v54, v13, v4 offset1:1
	ds_store_b32 v54, v5 offset:8
	global_wb scope:SCOPE_SE
	s_wait_dscnt 0x0
	s_barrier_signal -1
	s_barrier_wait -1
	global_inv scope:SCOPE_SE
	s_clause 0x2
	global_load_b64 v[13:14], v11, s[10:11]
	global_load_b64 v[11:12], v12, s[10:11]
	;; [unrolled: 1-line block ×3, first 2 shown]
	v_and_b32_e32 v2, 0xffff, v21
	v_mad_u16 v6, v19, 9, v23
	s_wait_alu 0xf1ff
	v_add_co_ci_u32_e64 v18, null, s9, 0, s0
	s_delay_alu instid0(VALU_DEP_3)
	v_mul_u32_u24_e32 v7, 9, v2
	ds_load_2addr_b32 v[21:22], v32 offset1:11
	ds_load_2addr_b32 v[23:24], v32 offset0:22 offset1:33
	ds_load_2addr_b32 v[2:3], v32 offset0:66 offset1:77
	ds_load_2addr_b32 v[4:5], v32 offset0:44 offset1:55
	v_and_b32_e32 v0, 0xff, v6
	v_and_b32_e32 v6, 0xff, v15
	ds_load_b32 v15, v32 offset:352
	v_add_nc_u32_e32 v7, v7, v16
	global_wb scope:SCOPE_SE
	s_wait_loadcnt_dscnt 0x0
	v_lshl_add_u32 v52, v0, 2, v49
	v_lshl_add_u32 v51, v6, 2, v49
	s_barrier_signal -1
	v_lshl_add_u32 v50, v7, 2, v49
	s_barrier_wait -1
	global_inv scope:SCOPE_SE
	v_lshrrev_b32_e32 v75, 16, v22
	v_lshrrev_b32_e32 v0, 16, v24
	;; [unrolled: 1-line block ×15, first 2 shown]
	v_mul_f16_e32 v20, v0, v65
	v_mul_f16_e32 v25, v24, v65
	;; [unrolled: 1-line block ×12, first 2 shown]
	v_fma_f16 v20, v24, v13, -v20
	v_fmac_f16_e32 v25, v0, v13
	v_fma_f16 v0, v2, v14, -v26
	v_fmac_f16_e32 v27, v1, v14
	v_fma_f16 v1, v4, v11, -v28
	v_fmac_f16_e32 v56, v6, v11
	v_fma_f16 v2, v3, v12, -v57
	v_fmac_f16_e32 v58, v7, v12
	v_fma_f16 v3, v5, v9, -v59
	v_fmac_f16_e32 v66, v16, v9
	v_fma_f16 v4, v15, v10, -v67
	v_fmac_f16_e32 v68, v19, v10
	v_add_f16_e32 v6, v20, v0
	v_add_f16_e32 v16, v25, v27
	v_add_f16_e32 v28, v1, v2
	v_sub_f16_e32 v57, v56, v58
	v_add_f16_e32 v59, v75, v56
	v_add_f16_e32 v56, v56, v58
	v_add_f16_e32 v69, v3, v4
	v_sub_f16_e32 v70, v66, v68
	;; [unrolled: 4-line block ×3, first 2 shown]
	v_add_f16_e32 v15, v76, v25
	v_sub_f16_e32 v24, v20, v0
	v_add_f16_e32 v20, v22, v1
	v_fma_f16 v25, -0.5, v6, v21
	v_fmac_f16_e32 v76, -0.5, v16
	v_sub_f16_e32 v1, v1, v2
	v_fmac_f16_e32 v22, -0.5, v28
	v_fmac_f16_e32 v75, -0.5, v56
	v_add_f16_e32 v67, v23, v3
	v_sub_f16_e32 v3, v3, v4
	v_fmac_f16_e32 v23, -0.5, v69
	v_fmac_f16_e32 v74, -0.5, v66
	v_add_f16_e32 v19, v5, v0
	v_add_f16_e32 v72, v15, v27
	;; [unrolled: 1-line block ×3, first 2 shown]
	v_fmamk_f16 v20, v7, 0x3aee, v25
	v_fmamk_f16 v85, v24, 0xbaee, v76
	v_fmac_f16_e32 v25, 0xbaee, v7
	v_fmac_f16_e32 v76, 0x3aee, v24
	v_add_f16_e32 v77, v59, v58
	v_fmamk_f16 v21, v57, 0x3aee, v22
	v_fmamk_f16 v89, v1, 0xbaee, v75
	v_fmac_f16_e32 v22, 0xbaee, v57
	v_fmac_f16_e32 v75, 0x3aee, v1
	v_add_f16_e32 v27, v67, v4
	v_add_f16_e32 v80, v71, v68
	v_fmamk_f16 v28, v70, 0x3aee, v23
	v_fmamk_f16 v90, v3, 0xbaee, v74
	v_fmac_f16_e32 v23, 0xbaee, v70
	v_fmac_f16_e32 v74, 0x3aee, v3
	v_pack_b32_f16 v0, v19, v72
	v_pack_b32_f16 v3, v20, v85
	;; [unrolled: 1-line block ×9, first 2 shown]
	ds_store_2addr_b32 v52, v0, v3 offset1:3
	ds_store_b32 v52, v4 offset:24
	ds_store_2addr_b32 v51, v1, v5 offset1:3
	ds_store_b32 v51, v6 offset:24
	;; [unrolled: 2-line block ×3, first 2 shown]
	global_wb scope:SCOPE_SE
	s_wait_dscnt 0x0
	s_barrier_signal -1
	s_barrier_wait -1
	global_inv scope:SCOPE_SE
	s_and_saveexec_b32 s0, vcc_lo
	s_cbranch_execz .LBB0_3
; %bb.2:
	ds_load_2addr_b32 v[19:20], v32 offset1:9
	ds_load_2addr_b32 v[25:26], v32 offset0:18 offset1:27
	ds_load_2addr_b32 v[21:22], v32 offset0:36 offset1:45
	;; [unrolled: 1-line block ×4, first 2 shown]
	ds_load_b32 v98, v32 offset:360
	s_wait_dscnt 0x5
	v_lshrrev_b32_e32 v72, 16, v19
	v_lshrrev_b32_e32 v85, 16, v20
	s_wait_dscnt 0x4
	v_lshrrev_b32_e32 v76, 16, v25
	v_lshrrev_b32_e32 v77, 16, v26
	s_wait_dscnt 0x3
	v_lshrrev_b32_e32 v89, 16, v21
	v_lshrrev_b32_e32 v75, 16, v22
	s_wait_dscnt 0x2
	v_lshrrev_b32_e32 v80, 16, v27
	v_lshrrev_b32_e32 v90, 16, v28
	s_wait_dscnt 0x1
	v_lshrrev_b32_e32 v74, 16, v23
	v_lshrrev_b32_e32 v99, 16, v24
	s_wait_dscnt 0x0
	v_lshrrev_b32_e32 v100, 16, v98
.LBB0_3:
	s_wait_alu 0xfffe
	s_or_b32 exec_lo, exec_lo, s0
	v_add_nc_u32_e32 v0, -9, v41
	s_delay_alu instid0(VALU_DEP_1) | instskip(NEXT) | instid1(VALU_DEP_1)
	v_cndmask_b32_e32 v0, v0, v41, vcc_lo
	v_mul_i32_i24_e32 v1, 40, v0
	v_mul_hi_i32_i24_e32 v0, 40, v0
	s_delay_alu instid0(VALU_DEP_2) | instskip(SKIP_1) | instid1(VALU_DEP_2)
	v_add_co_u32 v15, s0, s10, v1
	s_wait_alu 0xf1ff
	v_add_co_ci_u32_e64 v16, s0, s11, v0, s0
	s_clause 0x2
	global_load_b128 v[4:7], v[15:16], off offset:24
	global_load_b128 v[0:3], v[15:16], off offset:40
	global_load_b64 v[15:16], v[15:16], off offset:56
	s_wait_loadcnt 0x2
	v_lshrrev_b32_e32 v70, 16, v4
	v_lshrrev_b32_e32 v68, 16, v5
	s_wait_loadcnt 0x0
	v_lshrrev_b32_e32 v71, 16, v16
	v_lshrrev_b32_e32 v59, 16, v2
	;; [unrolled: 1-line block ×3, first 2 shown]
	v_mul_f16_e32 v91, v85, v70
	v_mul_f16_e32 v88, v20, v70
	v_mul_f16_e32 v106, v100, v71
	v_mul_f16_e32 v73, v98, v71
	v_lshrrev_b32_e32 v67, 16, v6
	v_lshrrev_b32_e32 v58, 16, v7
	;; [unrolled: 1-line block ×3, first 2 shown]
	v_mul_f16_e32 v92, v76, v68
	v_mul_f16_e32 v87, v25, v68
	;; [unrolled: 1-line block ×5, first 2 shown]
	v_fma_f16 v97, v20, v4, -v91
	v_fmac_f16_e32 v88, v85, v4
	v_fma_f16 v85, v98, v16, -v106
	v_fmac_f16_e32 v73, v100, v16
	v_lshrrev_b32_e32 v56, 16, v0
	v_lshrrev_b32_e32 v57, 16, v1
	v_mul_f16_e32 v93, v77, v67
	v_mul_f16_e32 v86, v26, v67
	;; [unrolled: 1-line block ×6, first 2 shown]
	v_fma_f16 v96, v25, v5, -v92
	v_fmac_f16_e32 v87, v76, v5
	v_fmac_f16_e32 v81, v90, v2
	v_fma_f16 v90, v24, v15, -v105
	v_fmac_f16_e32 v78, v99, v15
	v_sub_f16_e32 v116, v97, v85
	v_sub_f16_e32 v108, v88, v73
	v_mul_f16_e32 v94, v89, v58
	v_mul_f16_e32 v101, v75, v56
	;; [unrolled: 1-line block ×3, first 2 shown]
	v_fma_f16 v95, v26, v6, -v93
	v_fmac_f16_e32 v86, v77, v6
	v_fmac_f16_e32 v84, v89, v7
	v_fma_f16 v89, v23, v3, -v104
	v_fmac_f16_e32 v79, v74, v3
	v_add_f16_e32 v20, v97, v85
	v_add_f16_e32 v26, v88, v73
	v_sub_f16_e32 v123, v96, v90
	v_sub_f16_e32 v111, v87, v78
	v_mul_f16_e32 v105, 0xb853, v108
	v_mul_f16_e32 v107, 0xb853, v116
	;; [unrolled: 1-line block ×6, first 2 shown]
	v_fma_f16 v94, v21, v7, -v94
	v_fma_f16 v93, v22, v0, -v101
	;; [unrolled: 1-line block ×4, first 2 shown]
	v_add_f16_e32 v25, v96, v90
	v_add_f16_e32 v27, v87, v78
	v_sub_f16_e32 v125, v95, v89
	v_sub_f16_e32 v114, v86, v79
	v_mul_f16_e32 v103, 0xbb47, v111
	v_mul_f16_e32 v106, 0xbb47, v123
	;; [unrolled: 1-line block ×4, first 2 shown]
	v_fmamk_f16 v21, v20, 0x3abb, v105
	v_fma_f16 v22, v26, 0x3abb, -v107
	v_fmamk_f16 v23, v20, 0x36a6, v121
	v_fma_f16 v24, v26, 0x36a6, -v124
	v_fmac_f16_e32 v83, v75, v0
	v_fmac_f16_e32 v82, v80, v1
	v_add_f16_e32 v28, v95, v89
	v_add_f16_e32 v74, v86, v79
	v_sub_f16_e32 v126, v94, v91
	v_sub_f16_e32 v112, v84, v81
	v_mul_f16_e32 v101, 0xbbeb, v114
	v_mul_f16_e32 v104, 0xbbeb, v125
	;; [unrolled: 1-line block ×4, first 2 shown]
	v_fma_f16 v128, 0x36a6, v25, v103
	v_fma_f16 v129, v27, 0x36a6, -v106
	v_fma_f16 v130, 0xb93d, v25, v119
	v_fma_f16 v131, v27, 0xb93d, -v122
	v_add_f16_e32 v21, v19, v21
	v_add_f16_e32 v22, v72, v22
	;; [unrolled: 1-line block ×6, first 2 shown]
	v_sub_f16_e32 v127, v93, v92
	v_sub_f16_e32 v113, v83, v82
	v_mul_f16_e32 v99, 0xba0c, v112
	v_mul_f16_e32 v102, 0xba0c, v126
	;; [unrolled: 1-line block ×4, first 2 shown]
	v_fma_f16 v132, 0xb08e, v28, v101
	v_fma_f16 v133, v74, 0xb08e, -v104
	v_fma_f16 v134, 0xbbad, v28, v117
	v_fma_f16 v135, v74, 0xbbad, -v120
	v_add_f16_e64 v21, v128, v21
	v_add_f16_e64 v22, v129, v22
	;; [unrolled: 1-line block ×4, first 2 shown]
	v_add_f16_e32 v77, v93, v92
	v_add_f16_e32 v80, v83, v82
	v_mul_f16_e32 v98, 0xb482, v113
	v_mul_f16_e32 v100, 0xb482, v127
	;; [unrolled: 1-line block ×4, first 2 shown]
	v_fma_f16 v136, 0xb93d, v75, v99
	v_fma_f16 v137, v76, 0xb93d, -v102
	v_fma_f16 v138, 0xb08e, v75, v115
	v_fma_f16 v139, v76, 0xb08e, -v118
	v_add_f16_e64 v21, v132, v21
	v_add_f16_e64 v22, v133, v22
	;; [unrolled: 1-line block ×4, first 2 shown]
	v_fma_f16 v140, 0xbbad, v77, v98
	v_fma_f16 v141, v80, 0xbbad, -v100
	v_fma_f16 v128, 0x3abb, v77, v109
	v_fma_f16 v129, v80, 0x3abb, -v110
	v_add_f16_e64 v21, v136, v21
	v_add_f16_e64 v22, v137, v22
	;; [unrolled: 1-line block ×4, first 2 shown]
	s_delay_alu instid0(VALU_DEP_4) | instskip(NEXT) | instid1(VALU_DEP_4)
	v_add_f16_e64 v21, v140, v21
	v_add_f16_e64 v24, v141, v22
	s_delay_alu instid0(VALU_DEP_4) | instskip(NEXT) | instid1(VALU_DEP_4)
	v_add_f16_e64 v23, v128, v23
	v_add_f16_e64 v22, v129, v130
	s_and_saveexec_b32 s0, vcc_lo
	s_cbranch_execz .LBB0_5
; %bb.4:
	v_mul_f16_e64 v134, 0xb482, v116
	v_add_f16_e32 v97, v19, v97
	v_add_f16_e32 v88, v72, v88
	v_mul_f16_e64 v140, 0x3853, v123
	v_mul_f16_e64 v152, 0xb482, v108
	v_fma_f16 v139, 0xbbad, v26, v134
	v_mul_f16_e64 v157, 0xba0c, v116
	v_add_f16_e32 v96, v97, v96
	v_add_f16_e32 v87, v88, v87
	v_fma_f16 v144, 0x3abb, v27, v140
	v_add_f16_e64 v139, v72, v139
	v_mul_f16_e64 v145, 0xba0c, v125
	v_fma_f16 v155, v20, 0xbbad, -v152
	v_mul_f16_e64 v156, 0x3853, v111
	v_fma_f16 v161, 0xb93d, v26, v157
	v_mul_f16_e64 v162, 0x3beb, v123
	v_mul_f16_e64 v129, 0x3abb, v26
	v_add_f16_e32 v95, v96, v95
	v_add_f16_e32 v86, v87, v86
	v_add_f16_e64 v139, v144, v139
	v_fma_f16 v144, 0xb93d, v74, v145
	v_mul_f16_e64 v149, 0x3b47, v126
	v_add_f16_e64 v155, v19, v155
	v_fma_f16 v158, v25, 0x3abb, -v156
	v_mul_f16_e64 v159, 0xba0c, v114
	v_add_f16_e64 v161, v72, v161
	v_fma_f16 v164, 0xb08e, v27, v162
	v_mul_f16_e64 v165, 0xb853, v125
	v_mul_f16_e64 v128, 0x3abb, v20
	;; [unrolled: 1-line block ×3, first 2 shown]
	v_add_f16_e64 v107, v107, v129
	v_add_f16_e32 v94, v95, v94
	v_add_f16_e32 v84, v86, v84
	v_add_f16_e64 v139, v144, v139
	v_fma_f16 v144, 0x36a6, v76, v149
	v_add_f16_e64 v155, v158, v155
	v_fma_f16 v158, v28, 0xb93d, -v159
	v_mul_f16_e64 v163, 0x3b47, v112
	v_add_f16_e64 v161, v164, v161
	v_fma_f16 v164, 0x3abb, v74, v165
	v_mul_f16_e64 v167, 0xb482, v126
	v_mul_f16_e64 v132, 0x36a6, v25
	;; [unrolled: 1-line block ×3, first 2 shown]
	v_sub_f16_e64 v96, v128, v105
	v_add_f16_e32 v105, v72, v107
	v_add_f16_e64 v106, v106, v133
	v_add_f16_e32 v93, v94, v93
	v_add_f16_e32 v83, v84, v83
	v_add_f16_e64 v139, v144, v139
	v_mul_f16_e64 v144, 0xbbeb, v127
	v_add_f16_e64 v155, v158, v155
	v_fma_f16 v158, v75, 0x36a6, -v163
	v_mul_f16_e64 v166, 0xbbeb, v113
	v_add_f16_e64 v161, v164, v161
	v_fma_f16 v164, 0xbbad, v76, v167
	v_mul_f16_e32 v116, 0xbbeb, v116
	v_mul_f16_e64 v137, 0xb08e, v28
	v_mul_f16_e64 v146, 0xb93d, v76
	v_add_f16_e32 v88, v19, v96
	v_sub_f16_e64 v95, v132, v103
	v_add_f16_e32 v96, v106, v105
	v_add_f16_e64 v87, v104, v138
	v_add_f16_e32 v92, v93, v92
	v_add_f16_e32 v82, v83, v82
	v_fma_f16 v160, 0xb08e, v80, v144
	v_add_f16_e64 v155, v158, v155
	v_fma_f16 v158, v77, 0xb08e, -v166
	v_mul_f16_e64 v168, 0xba0c, v108
	v_add_f16_e64 v161, v164, v161
	v_mul_f16_e64 v164, 0x3b47, v127
	v_fma_f16 v172, 0xb08e, v26, v116
	v_mul_f16_e32 v123, 0x3482, v123
	v_mul_f16_e64 v143, 0xb93d, v75
	v_mul_f16_e64 v151, 0xbbad, v80
	v_add_f16_e32 v88, v95, v88
	v_sub_f16_e64 v94, v137, v101
	v_add_f16_e32 v86, v87, v96
	v_add_f16_e64 v87, v102, v146
	v_add_f16_e32 v91, v92, v91
	v_add_f16_e32 v81, v82, v81
	v_mul_f16_e64 v130, 0x36a6, v20
	v_mul_f16_e64 v131, 0x36a6, v26
	v_add_f16_e64 v139, v160, v139
	v_add_f16_e64 v155, v158, v155
	v_fma_f16 v158, v20, 0xb93d, -v168
	v_mul_f16_e64 v160, 0x3beb, v111
	v_fma_f16 v171, 0x36a6, v80, v164
	v_add_f16_e64 v172, v72, v172
	v_fma_f16 v174, 0xbbad, v27, v123
	v_mul_f16_e32 v108, 0xbbeb, v108
	v_mul_f16_e64 v150, 0xbbad, v77
	v_add_f16_e32 v88, v94, v88
	v_sub_f16_e64 v84, v143, v99
	v_add_f16_e32 v86, v87, v86
	v_add_f16_e64 v87, v100, v151
	v_add_f16_e32 v89, v91, v89
	v_fma_f16 v82, v26, 0xbbad, -v134
	v_add_f16_e32 v79, v81, v79
	v_mul_f16_e64 v135, 0xb93d, v25
	v_mul_f16_e64 v136, 0xb93d, v27
	v_add_f16_e64 v124, v124, v131
	v_sub_f16_e64 v121, v130, v121
	v_add_f16_e64 v158, v19, v158
	v_fma_f16 v169, v25, 0xb08e, -v160
	v_mul_f16_e64 v170, 0xb853, v114
	v_add_f16_e64 v161, v171, v161
	v_add_f16_e64 v171, v174, v172
	v_fma_f16 v174, v20, 0xb08e, -v108
	v_mul_f16_e32 v111, 0x3482, v111
	v_add_f16_e32 v83, v84, v88
	v_sub_f16_e64 v84, v150, v98
	v_add_f16_e32 v86, v87, v86
	v_add_f16_e32 v87, v89, v90
	v_fmac_f16_e64 v152, 0xbbad, v20
	v_add_f16_e32 v81, v72, v82
	v_fma_f16 v82, v27, 0x3abb, -v140
	v_add_f16_e32 v78, v79, v78
	v_fma_f16 v79, v26, 0xb93d, -v157
	v_fmac_f16_e64 v168, 0xb93d, v20
	v_fma_f16 v26, v26, 0xb08e, -v116
	v_fmac_f16_e32 v108, 0xb08e, v20
	v_mul_f16_e64 v141, 0xbbad, v28
	v_mul_f16_e64 v142, 0xbbad, v74
	v_add_f16_e32 v124, v72, v124
	v_add_f16_e64 v122, v122, v136
	v_add_f16_e32 v121, v19, v121
	v_sub_f16_e64 v119, v135, v119
	v_add_f16_e64 v158, v169, v158
	v_fma_f16 v169, v28, 0x3abb, -v170
	v_mul_f16_e64 v173, 0xb482, v112
	v_mul_f16_e32 v125, 0x3b47, v125
	v_add_f16_e64 v174, v19, v174
	v_fma_f16 v176, v25, 0xbbad, -v111
	v_mul_f16_e32 v114, 0x3b47, v114
	v_add_f16_e32 v83, v84, v83
	v_add_f16_e32 v84, v87, v85
	v_add_f16_e64 v85, v19, v152
	v_fmac_f16_e64 v156, 0x3abb, v25
	v_add_f16_e32 v81, v82, v81
	v_fma_f16 v82, v74, 0xb93d, -v145
	v_add_f16_e32 v79, v72, v79
	v_fma_f16 v87, v27, 0xb08e, -v162
	v_add_f16_e64 v20, v19, v168
	v_fmac_f16_e64 v160, 0xb08e, v25
	v_add_f16_e32 v26, v72, v26
	v_fma_f16 v27, v27, 0xbbad, -v123
	v_add_f16_e32 v19, v19, v108
	v_fmac_f16_e32 v111, 0xbbad, v25
	v_mul_f16_e64 v147, 0xb08e, v75
	v_mul_f16_e64 v148, 0xb08e, v76
	v_add_f16_e32 v122, v122, v124
	v_add_f16_e64 v120, v120, v142
	v_add_f16_e32 v119, v119, v121
	v_sub_f16_e64 v117, v141, v117
	v_add_f16_e64 v158, v169, v158
	v_fma_f16 v169, v75, 0xbbad, -v173
	v_fma_f16 v172, 0x36a6, v74, v125
	v_mul_f16_e32 v126, 0xb853, v126
	v_add_f16_e64 v131, v176, v174
	v_fma_f16 v130, v28, 0x36a6, -v114
	v_mul_f16_e32 v112, 0xb853, v112
	v_add_f16_e64 v85, v156, v85
	v_fmac_f16_e64 v159, 0xb93d, v28
	v_add_f16_e32 v81, v82, v81
	v_fma_f16 v82, v76, 0x36a6, -v149
	v_add_f16_e32 v79, v87, v79
	v_fma_f16 v87, v74, 0x3abb, -v165
	v_add_f16_e64 v20, v160, v20
	v_fmac_f16_e64 v170, 0x3abb, v28
	v_add_f16_e32 v25, v27, v26
	v_fma_f16 v26, v74, 0x36a6, -v125
	v_add_f16_e32 v19, v111, v19
	v_fmac_f16_e32 v114, 0x36a6, v28
	v_mul_f16_e64 v153, 0x3abb, v77
	v_mul_f16_e64 v154, 0x3abb, v80
	v_add_f16_e32 v120, v120, v122
	v_add_f16_e64 v118, v118, v148
	v_add_f16_e32 v117, v117, v119
	v_sub_f16_e64 v115, v147, v115
	v_add_f16_e64 v158, v169, v158
	v_mul_f16_e64 v169, 0x3b47, v113
	v_add_f16_e64 v171, v172, v171
	v_fma_f16 v172, 0x3abb, v76, v126
	v_mul_f16_e32 v127, 0xba0c, v127
	v_add_f16_e64 v130, v130, v131
	v_fma_f16 v131, v75, 0x3abb, -v112
	v_mul_f16_e32 v113, 0xba0c, v113
	v_add_f16_e64 v85, v159, v85
	v_fmac_f16_e64 v163, 0x36a6, v75
	v_add_f16_e32 v81, v82, v81
	v_fma_f16 v82, v80, 0xb08e, -v144
	v_add_f16_e32 v79, v87, v79
	v_fma_f16 v87, v76, 0xbbad, -v167
	v_add_f16_e64 v20, v170, v20
	v_fmac_f16_e64 v173, 0xbbad, v75
	v_add_f16_e32 v25, v26, v25
	v_fma_f16 v26, v76, 0x3abb, -v126
	v_add_f16_e32 v19, v114, v19
	v_fmac_f16_e32 v112, 0x3abb, v75
	v_add_f16_e32 v118, v118, v120
	v_add_f16_e64 v110, v110, v154
	v_add_f16_e32 v115, v115, v117
	v_sub_f16_e64 v109, v153, v109
	v_add_f16_e32 v73, v78, v73
	v_fma_f16 v175, v77, 0x36a6, -v169
	v_add_f16_e64 v171, v172, v171
	v_fma_f16 v172, 0xb93d, v80, v127
	v_add_f16_e64 v121, v131, v130
	v_fma_f16 v119, v77, 0xb93d, -v113
	v_add_f16_e64 v85, v163, v85
	v_fmac_f16_e64 v166, 0xb08e, v77
	v_add_f16_e32 v78, v82, v81
	v_add_f16_e32 v79, v87, v79
	v_fma_f16 v82, v80, 0x36a6, -v164
	v_add_f16_e64 v20, v173, v20
	v_fmac_f16_e64 v169, 0x36a6, v77
	v_add_f16_e32 v25, v26, v25
	v_fma_f16 v26, v80, 0xb93d, -v127
	v_add_f16_e32 v19, v112, v19
	v_fmac_f16_e32 v113, 0xb93d, v77
	v_add_f16_e32 v110, v110, v118
	v_add_f16_e32 v109, v109, v115
	v_pack_b32_f16 v27, v84, v73
	v_add_f16_e64 v158, v175, v158
	v_add_f16_e64 v171, v172, v171
	v_add_f16_e32 v97, v119, v121
	v_add_f16_e64 v81, v166, v85
	v_add_f16_e32 v28, v82, v79
	;; [unrolled: 2-line block ×3, first 2 shown]
	v_add_f16_e32 v19, v113, v19
	ds_store_b32 v32, v27
	v_lshl_add_u32 v26, v41, 2, v49
	v_pack_b32_f16 v27, v83, v86
	v_pack_b32_f16 v72, v109, v110
	;; [unrolled: 1-line block ×8, first 2 shown]
	v_perm_b32 v25, v22, v23, 0x5040100
	v_perm_b32 v28, v24, v21, 0x5040100
	ds_store_2addr_b32 v26, v27, v72 offset0:9 offset1:18
	ds_store_2addr_b32 v26, v73, v74 offset0:27 offset1:36
	;; [unrolled: 1-line block ×5, first 2 shown]
.LBB0_5:
	s_wait_alu 0xfffe
	s_or_b32 exec_lo, exec_lo, s0
	global_wb scope:SCOPE_SE
	s_wait_dscnt 0x0
	s_barrier_signal -1
	s_barrier_wait -1
	global_inv scope:SCOPE_SE
	global_load_b32 v72, v[17:18], off offset:396
	v_lshlrev_b32_e32 v17, 2, v41
	s_add_nc_u64 s[0:1], s[8:9], 0x18c
	s_clause 0x7
	global_load_b32 v73, v17, s[0:1] offset:44
	global_load_b32 v74, v17, s[0:1] offset:132
	;; [unrolled: 1-line block ×8, first 2 shown]
	ds_load_2addr_b32 v[17:18], v32 offset1:11
	ds_load_2addr_b32 v[19:20], v32 offset0:22 offset1:33
	ds_load_2addr_b32 v[25:26], v32 offset0:66 offset1:77
	;; [unrolled: 1-line block ×3, first 2 shown]
	ds_load_b32 v81, v32 offset:352
	s_wait_dscnt 0x4
	v_lshrrev_b32_e32 v82, 16, v17
	s_wait_dscnt 0x3
	v_lshrrev_b32_e32 v83, 16, v20
	;; [unrolled: 2-line block ×3, first 2 shown]
	v_lshrrev_b32_e32 v85, 16, v18
	v_lshrrev_b32_e32 v88, 16, v26
	;; [unrolled: 1-line block ×3, first 2 shown]
	s_wait_dscnt 0x1
	v_lshrrev_b32_e32 v86, 16, v27
	v_lshrrev_b32_e32 v90, 16, v28
	s_wait_dscnt 0x0
	v_lshrrev_b32_e32 v91, 16, v81
	s_wait_loadcnt 0x7
	v_lshrrev_b32_e32 v95, 16, v73
	v_lshrrev_b32_e32 v87, 16, v72
	s_wait_loadcnt 0x6
	v_lshrrev_b32_e32 v93, 16, v74
	s_wait_loadcnt 0x4
	;; [unrolled: 2-line block ×3, first 2 shown]
	v_lshrrev_b32_e32 v97, 16, v77
	v_lshrrev_b32_e32 v96, 16, v75
	v_mul_f16_e32 v92, v82, v87
	v_mul_f16_e32 v87, v17, v87
	s_wait_loadcnt 0x0
	v_lshrrev_b32_e32 v98, 16, v80
	v_lshrrev_b32_e32 v99, 16, v79
	;; [unrolled: 1-line block ×3, first 2 shown]
	v_fma_f16 v17, v17, v72, -v92
	v_fmac_f16_e32 v87, v82, v72
	v_mul_f16_e32 v72, v83, v93
	v_mul_f16_e32 v82, v20, v93
	;; [unrolled: 1-line block ×16, first 2 shown]
	v_fma_f16 v18, v18, v73, -v94
	v_fmac_f16_e32 v95, v85, v73
	v_fma_f16 v25, v25, v76, -v92
	v_fmac_f16_e32 v93, v84, v76
	;; [unrolled: 2-line block ×8, first 2 shown]
	v_pack_b32_f16 v17, v17, v87
	v_pack_b32_f16 v18, v18, v95
	v_pack_b32_f16 v25, v25, v93
	v_pack_b32_f16 v26, v26, v97
	v_pack_b32_f16 v20, v20, v82
	v_pack_b32_f16 v19, v19, v98
	v_pack_b32_f16 v27, v27, v96
	v_pack_b32_f16 v28, v28, v99
	v_pack_b32_f16 v72, v72, v100
	ds_store_2addr_b32 v32, v17, v18 offset1:11
	ds_store_2addr_b32 v32, v25, v26 offset0:66 offset1:77
	ds_store_2addr_b32 v32, v19, v20 offset0:22 offset1:33
	ds_store_2addr_b32 v32, v27, v28 offset0:44 offset1:55
	ds_store_b32 v32, v72 offset:352
	global_wb scope:SCOPE_SE
	s_wait_dscnt 0x0
	s_barrier_signal -1
	s_barrier_wait -1
	global_inv scope:SCOPE_SE
	ds_load_2addr_b32 v[17:18], v32 offset1:11
	ds_load_2addr_b32 v[19:20], v32 offset0:44 offset1:55
	ds_load_2addr_b32 v[25:26], v32 offset0:66 offset1:77
	;; [unrolled: 1-line block ×3, first 2 shown]
	ds_load_b32 v72, v32 offset:352
	global_wb scope:SCOPE_SE
	s_wait_dscnt 0x0
	s_barrier_signal -1
	s_barrier_wait -1
	global_inv scope:SCOPE_SE
	v_pk_add_f16 v73, v18, v19
	v_pk_add_f16 v74, v19, v26
	v_pk_add_f16 v19, v19, v26 neg_lo:[0,1] neg_hi:[0,1]
	v_pk_add_f16 v76, v17, v28
	v_pk_add_f16 v77, v28, v25
	v_pk_add_f16 v28, v28, v25 neg_lo:[0,1] neg_hi:[0,1]
	v_pk_add_f16 v75, v27, v20
	v_pk_add_f16 v78, v20, v72
	v_pk_add_f16 v20, v20, v72 neg_lo:[0,1] neg_hi:[0,1]
	v_pk_fma_f16 v18, v74, 0.5, v18 op_sel_hi:[1,0,1] neg_lo:[1,0,0] neg_hi:[1,0,0]
	v_pk_mul_f16 v19, 0x3aee, v19 op_sel_hi:[0,1]
	v_pk_fma_f16 v17, v77, 0.5, v17 op_sel_hi:[1,0,1] neg_lo:[1,0,0] neg_hi:[1,0,0]
	v_pk_mul_f16 v28, 0x3aee, v28 op_sel_hi:[0,1]
	;; [unrolled: 2-line block ×3, first 2 shown]
	v_pk_add_f16 v26, v73, v26
	v_pk_add_f16 v73, v18, v19 op_sel:[0,1] op_sel_hi:[1,0] neg_lo:[0,1] neg_hi:[0,1]
	v_pk_add_f16 v18, v18, v19 op_sel:[0,1] op_sel_hi:[1,0]
	v_pk_add_f16 v19, v17, v28 op_sel:[0,1] op_sel_hi:[1,0] neg_lo:[0,1] neg_hi:[0,1]
	v_pk_add_f16 v17, v17, v28 op_sel:[0,1] op_sel_hi:[1,0]
	;; [unrolled: 2-line block ×3, first 2 shown]
	v_pk_add_f16 v25, v76, v25
	v_bfi_b32 v27, 0xffff, v73, v18
	v_bfi_b32 v74, 0xffff, v19, v17
	;; [unrolled: 1-line block ×4, first 2 shown]
	v_pk_add_f16 v72, v75, v72
	v_bfi_b32 v19, 0xffff, v28, v20
	v_bfi_b32 v20, 0xffff, v20, v28
	ds_store_2addr_b32 v53, v25, v74 offset1:1
	ds_store_b32 v53, v17 offset:8
	ds_store_2addr_b32 v55, v26, v27 offset1:1
	ds_store_b32 v55, v18 offset:8
	;; [unrolled: 2-line block ×3, first 2 shown]
	global_wb scope:SCOPE_SE
	s_wait_dscnt 0x0
	s_barrier_signal -1
	s_barrier_wait -1
	global_inv scope:SCOPE_SE
	ds_load_2addr_b32 v[17:18], v32 offset1:11
	ds_load_2addr_b32 v[19:20], v32 offset0:22 offset1:33
	ds_load_2addr_b32 v[54:55], v32 offset0:66 offset1:77
	;; [unrolled: 1-line block ×3, first 2 shown]
	ds_load_b32 v25, v32 offset:352
	global_wb scope:SCOPE_SE
	s_wait_dscnt 0x0
	s_barrier_signal -1
	s_barrier_wait -1
	global_inv scope:SCOPE_SE
	v_lshrrev_b32_e32 v53, 16, v17
	v_lshrrev_b32_e32 v27, 16, v20
	;; [unrolled: 1-line block ×6, first 2 shown]
	v_mul_f16_e32 v79, v65, v20
	v_lshrrev_b32_e32 v78, 16, v25
	v_mul_f16_e32 v80, v64, v54
	v_mul_f16_e32 v81, v63, v72
	;; [unrolled: 1-line block ×6, first 2 shown]
	v_fma_f16 v27, v13, v27, -v79
	v_mul_f16_e32 v63, v63, v75
	v_mul_f16_e32 v62, v62, v76
	v_mul_f16_e32 v61, v61, v77
	v_mul_f16_e32 v84, v60, v25
	v_mul_f16_e32 v79, v60, v78
	v_fma_f16 v74, v14, v74, -v80
	v_fma_f16 v75, v11, v75, -v81
	;; [unrolled: 1-line block ×3, first 2 shown]
	v_fmac_f16_e32 v65, v13, v20
	v_fmac_f16_e32 v64, v14, v54
	v_lshrrev_b32_e32 v26, 16, v18
	v_fma_f16 v77, v9, v77, -v83
	v_fmac_f16_e32 v63, v11, v72
	v_fmac_f16_e32 v62, v12, v55
	;; [unrolled: 1-line block ×3, first 2 shown]
	v_add_f16_e32 v9, v53, v27
	v_fma_f16 v78, v10, v78, -v84
	v_fmac_f16_e32 v79, v10, v25
	v_add_f16_e32 v10, v27, v74
	v_add_f16_e32 v13, v75, v76
	;; [unrolled: 1-line block ×3, first 2 shown]
	v_lshrrev_b32_e32 v28, 16, v19
	v_sub_f16_e32 v12, v27, v74
	v_add_f16_e32 v11, v26, v75
	v_add_f16_e32 v25, v9, v74
	;; [unrolled: 1-line block ×3, first 2 shown]
	v_sub_f16_e32 v20, v75, v76
	v_add_f16_e32 v54, v77, v78
	v_add_f16_e32 v75, v61, v79
	;; [unrolled: 1-line block ×3, first 2 shown]
	v_fmac_f16_e32 v53, -0.5, v10
	v_sub_f16_e32 v10, v65, v64
	v_fmac_f16_e32 v26, -0.5, v13
	v_fma_f16 v13, -0.5, v73, v17
	v_add_f16_e32 v14, v28, v77
	v_add_f16_e32 v65, v18, v63
	;; [unrolled: 1-line block ×3, first 2 shown]
	v_sub_f16_e32 v11, v63, v62
	v_fmac_f16_e32 v18, -0.5, v74
	v_sub_f16_e32 v72, v77, v78
	v_add_f16_e32 v63, v19, v61
	v_fmac_f16_e32 v28, -0.5, v54
	v_sub_f16_e32 v76, v61, v79
	v_fmac_f16_e32 v19, -0.5, v75
	v_add_f16_e32 v9, v55, v64
	v_fmamk_f16 v61, v10, 0x3aee, v53
	v_fmac_f16_e32 v53, 0xbaee, v10
	v_fmamk_f16 v10, v12, 0xbaee, v13
	v_fmac_f16_e32 v13, 0x3aee, v12
	v_add_f16_e32 v27, v14, v78
	v_add_f16_e32 v14, v65, v62
	v_fmamk_f16 v54, v11, 0x3aee, v26
	v_fmamk_f16 v17, v20, 0xbaee, v18
	v_fmac_f16_e32 v26, 0xbaee, v11
	v_fmac_f16_e32 v18, 0x3aee, v20
	v_add_f16_e32 v11, v63, v79
	v_fmamk_f16 v55, v76, 0x3aee, v28
	v_fmamk_f16 v12, v72, 0xbaee, v19
	v_fmac_f16_e32 v28, 0xbaee, v76
	v_fmac_f16_e32 v19, 0x3aee, v72
	v_pack_b32_f16 v20, v9, v25
	v_pack_b32_f16 v64, v10, v61
	;; [unrolled: 1-line block ×9, first 2 shown]
	ds_store_2addr_b32 v52, v20, v64 offset1:3
	ds_store_b32 v52, v65 offset:24
	ds_store_2addr_b32 v51, v62, v72 offset1:3
	ds_store_b32 v51, v73 offset:24
	ds_store_2addr_b32 v50, v63, v74 offset1:3
	ds_store_b32 v50, v75 offset:24
	global_wb scope:SCOPE_SE
	s_wait_dscnt 0x0
	s_barrier_signal -1
	s_barrier_wait -1
	global_inv scope:SCOPE_SE
	s_and_saveexec_b32 s0, vcc_lo
	s_cbranch_execz .LBB0_7
; %bb.6:
	ds_load_2addr_b32 v[9:10], v32 offset1:9
	ds_load_2addr_b32 v[13:14], v32 offset0:18 offset1:27
	ds_load_2addr_b32 v[17:18], v32 offset0:36 offset1:45
	ds_load_2addr_b32 v[11:12], v32 offset0:54 offset1:63
	ds_load_2addr_b32 v[19:20], v32 offset0:72 offset1:81
	ds_load_b32 v21, v32 offset:360
	s_wait_dscnt 0x5
	v_lshrrev_b32_e32 v25, 16, v9
	v_lshrrev_b32_e32 v61, 16, v10
	s_wait_dscnt 0x4
	v_lshrrev_b32_e32 v53, 16, v13
	v_lshrrev_b32_e32 v60, 16, v14
	;; [unrolled: 3-line block ×5, first 2 shown]
	s_wait_dscnt 0x0
	v_lshrrev_b32_e32 v24, 16, v21
	v_mov_b32_e32 v23, v20
.LBB0_7:
	s_wait_alu 0xfffe
	s_or_b32 exec_lo, exec_lo, s0
	s_and_saveexec_b32 s0, vcc_lo
	s_cbranch_execz .LBB0_9
; %bb.8:
	v_mul_f16_e32 v20, v71, v21
	v_mul_f16_e32 v50, v70, v10
	;; [unrolled: 1-line block ×5, first 2 shown]
	v_fma_f16 v20, v16, v24, -v20
	v_fma_f16 v50, v4, v61, -v50
	v_mul_f16_e32 v61, v70, v61
	v_mul_f16_e32 v24, v71, v24
	v_fma_f16 v51, v15, v22, -v51
	v_fma_f16 v52, v5, v53, -v52
	v_add_f16_e32 v62, v20, v50
	v_mul_f16_e32 v53, v68, v53
	v_mul_f16_e32 v22, v69, v22
	v_fmac_f16_e32 v61, v4, v10
	v_fmac_f16_e32 v24, v16, v21
	v_add_f16_e32 v10, v51, v52
	v_fmac_f16_e32 v53, v5, v13
	v_fmac_f16_e32 v22, v15, v23
	v_mul_f16_e32 v5, 0xbbad, v62
	v_sub_f16_e32 v13, v61, v24
	v_mul_f16_e32 v15, 0x3abb, v10
	v_mul_f16_e32 v23, v66, v19
	v_sub_f16_e32 v4, v53, v22
	v_mul_f16_e32 v64, v67, v60
	v_fmamk_f16 v16, v13, 0x3482, v5
	v_fma_f16 v60, v6, v60, -v63
	v_fma_f16 v23, v3, v28, -v23
	v_fmamk_f16 v21, v4, 0xb853, v15
	v_mul_f16_e32 v63, v58, v17
	v_add_f16_e32 v16, v25, v16
	v_fmac_f16_e32 v64, v6, v14
	v_sub_f16_e32 v68, v52, v51
	v_mul_f16_e32 v14, v58, v54
	v_fma_f16 v6, v7, v54, -v63
	v_add_f16_e32 v16, v21, v16
	v_mul_f16_e32 v21, v66, v28
	v_mul_f16_e32 v28, v59, v12
	v_add_f16_e32 v63, v24, v61
	v_mul_f16_e32 v96, 0x3482, v68
	v_fmac_f16_e32 v14, v7, v17
	v_fmac_f16_e32 v21, v3, v19
	v_mul_f16_e32 v19, v59, v55
	v_sub_f16_e32 v59, v50, v20
	v_fma_f16 v3, v2, v55, -v28
	v_add_f16_e32 v61, v9, v61
	v_add_f16_e32 v65, v23, v60
	v_fmac_f16_e32 v19, v2, v12
	v_mul_f16_e32 v12, v56, v18
	v_mul_f16_e32 v2, v57, v11
	;; [unrolled: 1-line block ×3, first 2 shown]
	v_sub_f16_e32 v71, v6, v3
	v_mul_f16_e32 v66, 0xb482, v59
	v_fma_f16 v12, v0, v26, -v12
	v_mul_f16_e32 v26, v56, v26
	v_fma_f16 v2, v1, v27, -v2
	v_mul_f16_e32 v27, v57, v27
	v_add_f16_e32 v57, v22, v53
	v_fmamk_f16 v95, v63, 0xb08e, v91
	v_fmac_f16_e32 v26, v0, v18
	v_sub_f16_e32 v0, v60, v23
	v_add_f16_e32 v18, v21, v64
	v_fmamk_f16 v98, v57, 0xbbad, v96
	v_add_f16_e32 v95, v9, v95
	v_add_f16_e32 v73, v19, v14
	v_mul_f16_e32 v99, 0x3b47, v0
	v_mul_f16_e32 v101, 0xb853, v71
	v_add_f16_e32 v53, v53, v61
	v_add_f16_e32 v95, v98, v95
	v_mul_f16_e32 v28, 0xb93d, v65
	v_fmamk_f16 v98, v18, 0x36a6, v99
	v_sub_f16_e32 v54, v64, v21
	v_add_f16_e32 v55, v3, v6
	v_fmamk_f16 v56, v63, 0xbbad, v66
	v_mul_f16_e32 v69, 0x3853, v68
	v_mul_f16_e32 v79, 0xba0c, v59
	v_add_f16_e32 v95, v98, v95
	v_fmamk_f16 v98, v73, 0x3abb, v101
	v_add_f16_e32 v50, v50, v25
	v_add_f16_e32 v53, v64, v53
	v_fmamk_f16 v7, v54, 0x3a0c, v28
	v_mul_f16_e32 v17, 0x36a6, v55
	v_sub_f16_e32 v58, v14, v19
	v_add_f16_e32 v67, v2, v12
	v_fmac_f16_e32 v27, v1, v11
	v_add_f16_e32 v1, v9, v56
	v_fmamk_f16 v11, v57, 0x3abb, v69
	v_mul_f16_e32 v56, 0xba0c, v0
	v_fmamk_f16 v83, v63, 0xb93d, v79
	v_mul_f16_e32 v84, 0x3beb, v68
	v_add_f16_e32 v95, v98, v95
	v_mul_f16_e32 v98, 0xbb47, v59
	v_mul_f16_e32 v59, 0xb853, v59
	v_add_f16_e32 v50, v52, v50
	v_add_f16_e32 v14, v14, v53
	;; [unrolled: 1-line block ×3, first 2 shown]
	v_fmamk_f16 v16, v58, 0xbb47, v17
	v_mul_f16_e32 v70, 0xb08e, v67
	v_sub_f16_e32 v72, v26, v27
	v_add_f16_e32 v1, v11, v1
	v_fmamk_f16 v11, v18, 0xb93d, v56
	v_mul_f16_e32 v74, 0x3b47, v71
	v_add_f16_e32 v83, v9, v83
	v_fmamk_f16 v86, v57, 0xb08e, v84
	v_mul_f16_e32 v87, 0xb853, v0
	v_fmamk_f16 v52, v63, 0x3abb, v59
	v_mul_f16_e32 v61, 0xbb47, v68
	v_add_f16_e32 v50, v60, v50
	v_add_f16_e32 v14, v26, v14
	;; [unrolled: 1-line block ×3, first 2 shown]
	v_fmamk_f16 v16, v72, 0x3beb, v70
	v_add_f16_e32 v1, v11, v1
	v_fmamk_f16 v11, v73, 0x36a6, v74
	v_mul_f16_e32 v75, 0xb93d, v62
	v_add_f16_e32 v83, v86, v83
	v_fmamk_f16 v86, v18, 0x3abb, v87
	v_mul_f16_e32 v89, 0xb482, v71
	v_mul_f16_e32 v110, 0x3482, v0
	v_add_f16_e32 v52, v9, v52
	v_fmamk_f16 v60, v57, 0x36a6, v61
	v_mul_f16_e32 v0, 0xbbeb, v0
	v_add_f16_e32 v6, v6, v50
	v_add_f16_e32 v14, v27, v14
	;; [unrolled: 1-line block ×3, first 2 shown]
	v_sub_f16_e32 v16, v12, v2
	v_add_f16_e32 v1, v11, v1
	v_fmamk_f16 v11, v13, 0x3a0c, v75
	v_mul_f16_e32 v76, 0xb08e, v10
	v_add_f16_e32 v77, v27, v26
	v_add_f16_e32 v83, v86, v83
	v_fmamk_f16 v86, v73, 0xbbad, v89
	v_add_f16_e32 v52, v60, v52
	v_fmamk_f16 v53, v18, 0xb08e, v0
	v_add_f16_e32 v6, v12, v6
	v_mul_f16_e32 v26, 0xba0c, v71
	v_add_f16_e32 v14, v19, v14
	v_mul_f16_e32 v78, 0xbbeb, v16
	v_add_f16_e32 v11, v25, v11
	v_fmamk_f16 v80, v4, 0xbbeb, v76
	v_mul_f16_e32 v81, 0x3abb, v65
	v_add_f16_e32 v83, v86, v83
	v_mul_f16_e32 v86, 0x3b47, v16
	v_mul_f16_e32 v105, 0xba0c, v16
	;; [unrolled: 1-line block ×3, first 2 shown]
	v_add_f16_e32 v52, v53, v52
	v_add_f16_e32 v2, v2, v6
	v_fmac_f16_e32 v5, 0xb482, v13
	v_fmamk_f16 v6, v73, 0xb93d, v26
	v_mul_f16_e32 v16, 0xb482, v16
	v_add_f16_e32 v14, v21, v14
	v_add_f16_e32 v11, v80, v11
	v_fmamk_f16 v80, v54, 0x3853, v81
	v_mul_f16_e32 v85, 0xbbad, v55
	v_add_f16_e32 v2, v3, v2
	v_add_f16_e32 v3, v25, v5
	;; [unrolled: 1-line block ×3, first 2 shown]
	v_fmamk_f16 v6, v77, 0xbbad, v16
	v_add_f16_e32 v14, v22, v14
	v_add_f16_e32 v11, v80, v11
	v_fmamk_f16 v80, v58, 0x3482, v85
	v_mul_f16_e32 v88, 0x36a6, v67
	v_fmac_f16_e32 v15, 0x3853, v4
	v_add_f16_e32 v5, v6, v5
	v_add_f16_e32 v6, v24, v14
	v_fma_f16 v14, v63, 0xbbad, -v66
	v_fmamk_f16 v82, v77, 0xb08e, v78
	v_add_f16_e32 v11, v80, v11
	v_fmamk_f16 v80, v72, 0xbb47, v88
	v_mul_f16_e32 v90, 0xb08e, v62
	v_add_f16_e32 v3, v15, v3
	v_add_f16_e32 v14, v9, v14
	v_fma_f16 v15, v57, 0x3abb, -v69
	v_add_f16_e32 v1, v82, v1
	v_add_f16_e32 v11, v80, v11
	v_fmamk_f16 v80, v13, 0x3beb, v90
	v_mul_f16_e32 v82, 0xbbad, v10
	v_add_f16_e32 v14, v15, v14
	v_fma_f16 v15, v18, 0xb93d, -v56
	v_mul_f16_e32 v93, 0x36a6, v65
	v_add_f16_e32 v80, v25, v80
	v_fmamk_f16 v92, v4, 0xb482, v82
	v_mul_f16_e32 v97, 0x3abb, v55
	v_add_f16_e32 v14, v15, v14
	v_fma_f16 v15, v73, 0x36a6, -v74
	v_add_f16_e32 v2, v23, v2
	v_add_f16_e32 v80, v92, v80
	v_fmamk_f16 v92, v54, 0xbb47, v93
	v_fmamk_f16 v94, v77, 0x36a6, v86
	v_add_f16_e32 v14, v15, v14
	v_fma_f16 v15, v77, 0xb08e, -v78
	v_mul_f16_e32 v100, 0xb93d, v67
	v_add_f16_e32 v80, v92, v80
	v_fmamk_f16 v92, v58, 0x3853, v97
	v_add_f16_e32 v2, v51, v2
	v_add_f16_e32 v14, v15, v14
	v_fma_f16 v15, v63, 0xb08e, -v91
	v_fma_f16 v19, v63, 0xb93d, -v79
	v_add_f16_e32 v80, v92, v80
	v_mul_f16_e32 v92, 0x36a6, v62
	v_fma_f16 v21, v57, 0xbbad, -v96
	v_add_f16_e32 v15, v9, v15
	v_fmamk_f16 v106, v63, 0x36a6, v98
	v_mul_f16_e32 v107, 0xba0c, v68
	v_fmamk_f16 v102, v72, 0x3a0c, v100
	v_add_f16_e32 v83, v94, v83
	v_fmamk_f16 v94, v13, 0x3b47, v92
	v_mul_f16_e32 v103, 0xb93d, v10
	v_add_f16_e32 v2, v20, v2
	v_add_f16_e32 v19, v9, v19
	v_fma_f16 v20, v57, 0xb08e, -v84
	v_fmac_f16_e32 v92, 0xbb47, v13
	v_add_f16_e32 v15, v21, v15
	v_fma_f16 v21, v18, 0x36a6, -v99
	v_add_f16_e32 v106, v9, v106
	v_fmamk_f16 v109, v57, 0xb93d, v107
	v_add_f16_e32 v80, v102, v80
	v_add_f16_e32 v94, v25, v94
	v_fmamk_f16 v102, v4, 0x3a0c, v103
	v_mul_f16_e32 v104, 0xbbad, v65
	v_add_f16_e32 v19, v20, v19
	v_fma_f16 v20, v18, 0x3abb, -v87
	v_add_f16_e32 v23, v25, v92
	v_fmac_f16_e32 v103, 0xba0c, v4
	v_add_f16_e32 v15, v21, v15
	v_fma_f16 v21, v73, 0x3abb, -v101
	v_add_f16_e32 v106, v109, v106
	v_fmamk_f16 v109, v18, 0xbbad, v110
	v_mul_f16_e32 v112, 0x3beb, v71
	v_mul_f16_e32 v62, 0x3abb, v62
	v_fmac_f16_e32 v28, 0xba0c, v54
	v_add_f16_e32 v94, v102, v94
	v_fmamk_f16 v102, v54, 0xb482, v104
	v_mul_f16_e32 v108, 0xb08e, v55
	v_add_f16_e32 v19, v20, v19
	v_fma_f16 v20, v73, 0xbbad, -v89
	v_add_f16_e32 v23, v103, v23
	v_fmac_f16_e32 v104, 0x3482, v54
	v_add_f16_e32 v15, v21, v15
	v_fma_f16 v21, v77, 0xb93d, -v105
	v_add_f16_e32 v106, v109, v106
	v_fmamk_f16 v109, v73, 0xb08e, v112
	v_fmamk_f16 v114, v13, 0x3853, v62
	v_mul_f16_e32 v10, 0x36a6, v10
	v_add_f16_e32 v3, v28, v3
	v_fmac_f16_e32 v17, 0x3b47, v58
	v_fmac_f16_e32 v75, 0xba0c, v13
	;; [unrolled: 1-line block ×3, first 2 shown]
	v_add_f16_e32 v94, v102, v94
	v_fmamk_f16 v102, v58, 0xbbeb, v108
	v_add_f16_e32 v19, v20, v19
	v_fma_f16 v22, v77, 0x36a6, -v86
	v_add_f16_e32 v23, v104, v23
	v_fmac_f16_e32 v108, 0x3beb, v58
	v_add_f16_e32 v15, v21, v15
	v_fma_f16 v21, v63, 0x36a6, -v98
	v_fmac_f16_e32 v62, 0xb853, v13
	v_fma_f16 v13, v63, 0x3abb, -v59
	v_fmamk_f16 v111, v77, 0xb93d, v105
	v_add_f16_e32 v106, v109, v106
	v_fmamk_f16 v109, v77, 0x3abb, v113
	v_add_f16_e32 v114, v25, v114
	v_fmamk_f16 v116, v4, 0x3b47, v10
	v_mul_f16_e32 v65, 0xb08e, v65
	v_add_f16_e32 v3, v17, v3
	v_add_f16_e32 v17, v25, v75
	v_fmac_f16_e32 v76, 0x3beb, v4
	v_add_f16_e32 v20, v25, v90
	v_fmac_f16_e32 v82, 0x3482, v4
	v_add_f16_e32 v19, v22, v19
	v_add_f16_e32 v22, v108, v23
	;; [unrolled: 1-line block ×3, first 2 shown]
	v_fma_f16 v23, v57, 0xb93d, -v107
	v_add_f16_e32 v24, v25, v62
	v_fmac_f16_e32 v10, 0xbb47, v4
	v_add_f16_e32 v4, v9, v13
	v_fma_f16 v9, v57, 0x36a6, -v61
	v_add_f16_e32 v95, v111, v95
	v_add_f16_e32 v106, v109, v106
	;; [unrolled: 1-line block ×3, first 2 shown]
	v_fmamk_f16 v111, v54, 0x3beb, v65
	v_mul_f16_e32 v55, 0xb93d, v55
	v_add_f16_e32 v17, v76, v17
	v_fmac_f16_e32 v81, 0xb853, v54
	v_add_f16_e32 v20, v82, v20
	v_fmac_f16_e32 v93, 0x3b47, v54
	v_add_f16_e32 v13, v23, v21
	v_fma_f16 v21, v18, 0xbbad, -v110
	v_add_f16_e32 v10, v10, v24
	v_fmac_f16_e32 v65, 0xbbeb, v54
	v_add_f16_e32 v4, v9, v4
	v_fma_f16 v0, v18, 0xb08e, -v0
	v_add_f16_e32 v94, v102, v94
	v_mul_f16_e32 v102, 0x3abb, v67
	v_add_f16_e32 v109, v111, v109
	v_fmamk_f16 v111, v58, 0x3a0c, v55
	v_mul_f16_e32 v50, 0xbbad, v67
	v_add_f16_e32 v17, v81, v17
	v_fmac_f16_e32 v85, 0xb482, v58
	v_add_f16_e32 v20, v93, v20
	v_fmac_f16_e32 v97, 0xb853, v58
	v_add_f16_e32 v9, v21, v13
	v_fma_f16 v13, v73, 0xb08e, -v112
	v_add_f16_e32 v10, v65, v10
	v_fmac_f16_e32 v55, 0xba0c, v58
	v_add_f16_e32 v0, v0, v4
	v_fma_f16 v4, v73, 0xb93d, -v26
	v_fmamk_f16 v115, v72, 0xb853, v102
	v_add_f16_e32 v68, v111, v109
	v_fmamk_f16 v12, v72, 0x3482, v50
	v_fmac_f16_e32 v70, 0xbbeb, v72
	v_add_f16_e32 v17, v85, v17
	v_fmac_f16_e32 v88, 0x3b47, v72
	v_add_f16_e32 v20, v97, v20
	v_fmac_f16_e32 v100, 0xba0c, v72
	v_fmac_f16_e32 v102, 0x3853, v72
	v_add_f16_e32 v9, v13, v9
	v_fma_f16 v13, v77, 0x3abb, -v113
	v_add_f16_e32 v10, v55, v10
	v_fmac_f16_e32 v50, 0xb482, v72
	v_add_f16_e32 v0, v4, v0
	v_fma_f16 v4, v77, 0xbbad, -v16
	v_add_f16_e32 v94, v115, v94
	v_add_f16_e32 v12, v12, v68
	v_pack_b32_f16 v2, v6, v2
	v_add_f16_e32 v3, v70, v3
	v_add_f16_e32 v17, v88, v17
	;; [unrolled: 1-line block ×7, first 2 shown]
	ds_store_b32 v32, v2
	v_lshl_add_u32 v2, v41, 2, v49
	v_pack_b32_f16 v4, v5, v12
	v_pack_b32_f16 v5, v106, v94
	;; [unrolled: 1-line block ×10, first 2 shown]
	ds_store_2addr_b32 v2, v4, v5 offset0:9 offset1:18
	ds_store_2addr_b32 v2, v12, v11 offset0:27 offset1:36
	;; [unrolled: 1-line block ×5, first 2 shown]
.LBB0_9:
	s_wait_alu 0xfffe
	s_or_b32 exec_lo, exec_lo, s0
	global_wb scope:SCOPE_SE
	s_wait_dscnt 0x0
	s_barrier_signal -1
	s_barrier_wait -1
	global_inv scope:SCOPE_SE
	ds_load_2addr_b32 v[4:5], v32 offset1:11
	ds_load_2addr_b32 v[0:1], v32 offset0:22 offset1:33
	ds_load_2addr_b32 v[2:3], v32 offset0:66 offset1:77
	s_mov_b32 s8, 0xa052bf5b
	s_mov_b32 s9, 0x3f84afd6
	v_mad_co_u64_u32 v[17:18], null, s4, v41, 0
	s_wait_dscnt 0x2
	v_lshrrev_b32_e32 v6, 16, v4
	v_mul_f16_e32 v7, v48, v4
	s_wait_dscnt 0x1
	v_lshrrev_b32_e32 v9, 16, v1
	v_mul_f16_e32 v10, v47, v1
	;; [unrolled: 3-line block ×3, first 2 shown]
	v_fma_f16 v7, v42, v6, -v7
	v_fma_f16 v6, v45, v9, -v10
	s_delay_alu instid0(VALU_DEP_3) | instskip(NEXT) | instid1(VALU_DEP_3)
	v_fmac_f16_e32 v11, v42, v4
	v_cvt_f32_f16_e32 v7, v7
	v_mul_f16_e32 v4, v47, v9
	s_delay_alu instid0(VALU_DEP_4) | instskip(NEXT) | instid1(VALU_DEP_4)
	v_cvt_f32_f16_e32 v9, v6
	v_cvt_f32_f16_e32 v11, v11
	s_delay_alu instid0(VALU_DEP_4) | instskip(NEXT) | instid1(VALU_DEP_4)
	v_cvt_f64_f32_e32 v[6:7], v7
	v_fmac_f16_e32 v4, v45, v1
	s_delay_alu instid0(VALU_DEP_4) | instskip(SKIP_2) | instid1(VALU_DEP_4)
	v_cvt_f64_f32_e32 v[9:10], v9
	v_mul_f16_e32 v1, v46, v15
	v_cvt_f64_f32_e32 v[11:12], v11
	v_cvt_f32_f16_e32 v4, v4
	s_delay_alu instid0(VALU_DEP_3) | instskip(NEXT) | instid1(VALU_DEP_2)
	v_fmac_f16_e32 v1, v44, v2
	v_cvt_f64_f32_e32 v[13:14], v4
	v_mul_f16_e32 v4, v46, v2
	s_delay_alu instid0(VALU_DEP_3) | instskip(NEXT) | instid1(VALU_DEP_2)
	v_cvt_f32_f16_e32 v1, v1
	v_fma_f16 v4, v44, v15, -v4
	s_delay_alu instid0(VALU_DEP_2) | instskip(SKIP_1) | instid1(VALU_DEP_3)
	v_cvt_f64_f32_e32 v[1:2], v1
	v_mad_co_u64_u32 v[15:16], null, s6, v8, 0
	v_cvt_f32_f16_e32 v4, v4
	s_delay_alu instid0(VALU_DEP_1) | instskip(NEXT) | instid1(VALU_DEP_3)
	v_cvt_f64_f32_e32 v[19:20], v4
	v_mov_b32_e32 v4, v16
	v_mov_b32_e32 v16, v18
	s_delay_alu instid0(VALU_DEP_2) | instskip(NEXT) | instid1(VALU_DEP_2)
	v_mad_co_u64_u32 v[21:22], null, s7, v8, v[4:5]
	v_mad_co_u64_u32 v[22:23], null, s5, v41, v[16:17]
	v_lshrrev_b32_e32 v4, 16, v5
	s_wait_alu 0xfffe
	v_mul_f64_e32 v[6:7], s[8:9], v[6:7]
	s_mul_u64 s[6:7], s[4:5], 0x84
	v_mul_f64_e32 v[9:10], s[8:9], v[9:10]
	v_mul_f64_e32 v[11:12], s[8:9], v[11:12]
	v_mov_b32_e32 v18, v22
	v_mul_f16_e32 v8, v43, v4
	v_mul_f64_e32 v[13:14], s[8:9], v[13:14]
	s_delay_alu instid0(VALU_DEP_2) | instskip(SKIP_1) | instid1(VALU_DEP_2)
	v_fmac_f16_e32 v8, v39, v5
	v_mul_f16_e32 v5, v43, v5
	v_cvt_f32_f16_e32 v8, v8
	s_delay_alu instid0(VALU_DEP_2) | instskip(NEXT) | instid1(VALU_DEP_1)
	v_fma_f16 v4, v39, v4, -v5
	v_cvt_f32_f16_e32 v4, v4
	v_and_or_b32 v6, 0x1ff, v7, v6
	v_and_or_b32 v9, 0x1ff, v10, v9
	v_bfe_u32 v23, v10, 20, 11
	v_bfe_u32 v25, v12, 20, 11
	v_mov_b32_e32 v16, v21
	v_mul_f64_e32 v[21:22], s[8:9], v[1:2]
	v_lshlrev_b64_e32 v[1:2], 2, v[17:18]
	v_and_or_b32 v11, 0x1ff, v12, v11
	v_sub_nc_u32_e32 v45, 0x3f1, v25
	v_add_nc_u32_e32 v25, 0xfffffc10, v25
	v_lshlrev_b64_e32 v[15:16], 2, v[15:16]
	v_and_or_b32 v13, 0x1ff, v14, v13
	v_mul_f64_e32 v[17:18], s[8:9], v[19:20]
	v_bfe_u32 v19, v7, 20, 11
	v_lshrrev_b32_e32 v24, 8, v12
	v_lshrrev_b32_e32 v20, 8, v10
	v_add_co_u32 v15, vcc_lo, s2, v15
	s_wait_alu 0xfffd
	v_add_co_ci_u32_e32 v16, vcc_lo, s3, v16, vcc_lo
	v_sub_nc_u32_e32 v26, 0x3f1, v19
	s_delay_alu instid0(VALU_DEP_3) | instskip(SKIP_1) | instid1(VALU_DEP_3)
	v_add_co_u32 v15, vcc_lo, v15, v1
	s_wait_alu 0xfffd
	v_add_co_ci_u32_e32 v16, vcc_lo, v16, v2, vcc_lo
	v_cmp_ne_u32_e32 vcc_lo, 0, v6
	v_cvt_f64_f32_e32 v[1:2], v8
	v_lshrrev_b32_e32 v8, 8, v7
	v_add_nc_u32_e32 v19, 0xfffffc10, v19
	v_lshrrev_b32_e32 v27, 8, v14
	s_wait_alu 0xfffd
	v_cndmask_b32_e64 v6, 0, 1, vcc_lo
	v_cmp_ne_u32_e32 vcc_lo, 0, v9
	v_bfe_u32 v28, v14, 20, 11
	v_sub_nc_u32_e32 v41, 0x3f1, v23
	v_add_nc_u32_e32 v23, 0xfffffc10, v23
	v_and_or_b32 v6, 0xffe, v8, v6
	s_wait_alu 0xfffd
	v_cndmask_b32_e64 v9, 0, 1, vcc_lo
	v_cmp_ne_u32_e32 vcc_lo, 0, v11
	v_med3_i32 v8, v26, 0, 13
	v_sub_nc_u32_e32 v26, 0x3f1, v28
	v_lshl_or_b32 v46, v19, 12, v6
	v_and_or_b32 v9, 0xffe, v20, v9
	s_wait_alu 0xfffd
	v_cndmask_b32_e64 v11, 0, 1, vcc_lo
	v_and_or_b32 v21, 0x1ff, v22, v21
	v_cmp_ne_u32_e32 vcc_lo, 0, v13
	v_lshrrev_b32_e32 v42, 8, v22
	v_add_nc_u32_e32 v28, 0xfffffc10, v28
	v_and_or_b32 v11, 0xffe, v24, v11
	v_med3_i32 v24, v45, 0, 13
	s_wait_alu 0xfffd
	v_cndmask_b32_e64 v13, 0, 1, vcc_lo
	v_cmp_ne_u32_e32 vcc_lo, 0, v21
	v_or_b32_e32 v45, 0x1000, v6
	v_med3_i32 v20, v41, 0, 13
	v_lshl_or_b32 v48, v25, 12, v11
	v_and_or_b32 v13, 0xffe, v27, v13
	s_wait_alu 0xfffd
	v_cndmask_b32_e64 v21, 0, 1, vcc_lo
	v_cmp_ne_u32_e32 vcc_lo, 0, v6
	v_lshrrev_b32_e32 v49, v8, v45
	v_or_b32_e32 v27, 0x1000, v9
	v_med3_i32 v26, v26, 0, 13
	v_and_or_b32 v21, 0xffe, v42, v21
	s_wait_alu 0xfffd
	v_cndmask_b32_e64 v6, 0, 1, vcc_lo
	v_or_b32_e32 v42, 0x1000, v11
	v_cmp_ne_u32_e32 vcc_lo, 0, v11
	v_lshlrev_b32_e32 v8, v8, v49
	v_or_b32_e32 v50, 0x1000, v13
	v_lshl_or_b32 v51, v28, 12, v13
	v_lshrrev_b32_e32 v52, v24, v42
	s_wait_alu 0xfffd
	v_cndmask_b32_e64 v11, 0, 1, vcc_lo
	v_cmp_ne_u32_e32 vcc_lo, 0, v13
	v_lshrrev_b32_e32 v53, v20, v27
	v_lshrrev_b32_e32 v54, v26, v50
	v_lshlrev_b32_e32 v24, v24, v52
	v_lshl_or_b32 v47, v23, 12, v9
	s_wait_alu 0xfffd
	v_cndmask_b32_e64 v13, 0, 1, vcc_lo
	v_cmp_ne_u32_e32 vcc_lo, v8, v45
	v_lshlrev_b32_e32 v20, v20, v53
	v_lshlrev_b32_e32 v26, v26, v54
	v_lshl_or_b32 v11, v11, 9, 0x7c00
	v_lshrrev_b32_e32 v12, 16, v12
	s_wait_alu 0xfffd
	v_cndmask_b32_e64 v8, 0, 1, vcc_lo
	v_cmp_ne_u32_e32 vcc_lo, v24, v42
	v_lshl_or_b32 v6, v6, 9, 0x7c00
	v_lshrrev_b32_e32 v7, 16, v7
	v_bfe_u32 v44, v22, 20, 11
	v_or_b32_e32 v8, v49, v8
	s_wait_alu 0xfffd
	v_cndmask_b32_e64 v24, 0, 1, vcc_lo
	v_cmp_ne_u32_e32 vcc_lo, v20, v27
	v_and_or_b32 v17, 0x1ff, v18, v17
	v_sub_nc_u32_e32 v41, 0x3f1, v44
	s_delay_alu instid0(VALU_DEP_4) | instskip(SKIP_3) | instid1(VALU_DEP_2)
	v_or_b32_e32 v24, v52, v24
	s_wait_alu 0xfffd
	v_cndmask_b32_e64 v20, 0, 1, vcc_lo
	v_cmp_ne_u32_e32 vcc_lo, v26, v50
	v_or_b32_e32 v20, v53, v20
	s_wait_alu 0xfffd
	v_cndmask_b32_e64 v26, 0, 1, vcc_lo
	v_cmp_gt_i32_e32 vcc_lo, 1, v25
	s_delay_alu instid0(VALU_DEP_2) | instskip(SKIP_3) | instid1(VALU_DEP_2)
	v_or_b32_e32 v26, v54, v26
	s_wait_alu 0xfffd
	v_cndmask_b32_e32 v24, v48, v24, vcc_lo
	v_cmp_gt_i32_e32 vcc_lo, 1, v19
	v_and_b32_e32 v27, 7, v24
	s_wait_alu 0xfffd
	v_cndmask_b32_e32 v8, v46, v8, vcc_lo
	v_cmp_gt_i32_e32 vcc_lo, 1, v23
	s_delay_alu instid0(VALU_DEP_3) | instskip(NEXT) | instid1(VALU_DEP_3)
	v_cmp_eq_u32_e64 s0, 3, v27
	v_and_b32_e32 v42, 7, v8
	s_wait_alu 0xfffd
	v_cndmask_b32_e32 v20, v47, v20, vcc_lo
	v_cmp_gt_i32_e32 vcc_lo, 1, v28
	v_lshrrev_b32_e32 v8, 2, v8
	v_cmp_lt_i32_e64 s1, 5, v42
	v_cmp_eq_u32_e64 s2, 3, v42
	s_wait_alu 0xfffd
	v_cndmask_b32_e32 v26, v51, v26, vcc_lo
	v_cmp_lt_i32_e32 vcc_lo, 5, v27
	v_lshrrev_b32_e32 v5, 2, v20
	s_delay_alu instid0(VALU_DEP_3) | instskip(SKIP_4) | instid1(VALU_DEP_2)
	v_and_b32_e32 v27, 7, v26
	v_lshrrev_b32_e32 v24, 2, v24
	s_or_b32 vcc_lo, s0, vcc_lo
	v_cmp_gt_i32_e64 s0, 31, v19
	s_wait_alu 0xfffe
	v_add_co_ci_u32_e32 v24, vcc_lo, 0, v24, vcc_lo
	s_or_b32 vcc_lo, s2, s1
	v_cmp_eq_u32_e64 s1, 0x40f, v19
	s_wait_alu 0xfffe
	v_add_co_ci_u32_e32 v8, vcc_lo, 0, v8, vcc_lo
	v_cmp_gt_i32_e32 vcc_lo, 31, v25
	v_add_nc_u32_e32 v19, 0xfffffc10, v44
	s_delay_alu instid0(VALU_DEP_3)
	v_cndmask_b32_e64 v8, 0x7c00, v8, s0
	v_cmp_eq_u32_e64 s0, 0x40f, v25
	s_wait_alu 0xfffd
	v_cndmask_b32_e32 v24, 0x7c00, v24, vcc_lo
	v_cmp_lt_i32_e32 vcc_lo, 5, v27
	s_wait_alu 0xf1ff
	v_cndmask_b32_e64 v6, v8, v6, s1
	s_delay_alu instid0(VALU_DEP_3) | instskip(SKIP_1) | instid1(VALU_DEP_3)
	v_cndmask_b32_e64 v11, v24, v11, s0
	v_cmp_eq_u32_e64 s0, 3, v27
	v_and_or_b32 v6, 0x8000, v7, v6
	s_delay_alu instid0(VALU_DEP_3) | instskip(NEXT) | instid1(VALU_DEP_3)
	v_and_or_b32 v8, 0x8000, v12, v11
	s_or_b32 vcc_lo, s0, vcc_lo
	v_and_b32_e32 v12, 7, v20
	v_lshl_or_b32 v20, v19, 12, v21
	s_delay_alu instid0(VALU_DEP_3) | instskip(SKIP_3) | instid1(VALU_DEP_4)
	v_and_b32_e32 v7, 0xffff, v8
	v_lshrrev_b32_e32 v24, 2, v26
	v_lshl_or_b32 v8, v13, 9, 0x7c00
	v_cmp_eq_u32_e64 s0, 3, v12
	v_lshl_or_b32 v13, v6, 16, v7
	s_wait_alu 0xfffe
	v_add_co_ci_u32_e32 v11, vcc_lo, 0, v24, vcc_lo
	v_cmp_gt_i32_e32 vcc_lo, 31, v28
	v_or_b32_e32 v6, 0x1000, v21
	v_med3_i32 v7, v41, 0, 13
	global_store_b32 v[15:16], v13, off
	s_wait_alu 0xfffd
	v_cndmask_b32_e32 v11, 0x7c00, v11, vcc_lo
	v_cmp_eq_u32_e32 vcc_lo, 0x40f, v28
	s_wait_alu 0xfffd
	s_delay_alu instid0(VALU_DEP_2) | instskip(SKIP_4) | instid1(VALU_DEP_2)
	v_cndmask_b32_e32 v8, v11, v8, vcc_lo
	v_cmp_lt_i32_e32 vcc_lo, 5, v12
	v_lshrrev_b32_e32 v11, v7, v6
	v_lshrrev_b32_e32 v12, 16, v14
	s_or_b32 vcc_lo, s0, vcc_lo
	v_lshlrev_b32_e32 v7, v7, v11
	s_wait_alu 0xfffe
	v_add_co_ci_u32_e32 v14, vcc_lo, 0, v5, vcc_lo
	v_cmp_ne_u32_e32 vcc_lo, 0, v9
	v_cvt_f64_f32_e32 v[4:5], v4
	v_and_or_b32 v8, 0x8000, v12, v8
	s_wait_alu 0xfffd
	v_cndmask_b32_e64 v9, 0, 1, vcc_lo
	v_cmp_ne_u32_e32 vcc_lo, v7, v6
	s_delay_alu instid0(VALU_DEP_3) | instskip(NEXT) | instid1(VALU_DEP_3)
	v_and_b32_e32 v8, 0xffff, v8
	v_lshl_or_b32 v9, v9, 9, 0x7c00
	s_wait_alu 0xfffd
	v_cndmask_b32_e64 v6, 0, 1, vcc_lo
	v_cmp_gt_i32_e32 vcc_lo, 31, v23
	s_delay_alu instid0(VALU_DEP_2)
	v_or_b32_e32 v11, v11, v6
	s_wait_alu 0xfffd
	v_cndmask_b32_e32 v14, 0x7c00, v14, vcc_lo
	v_cmp_ne_u32_e32 vcc_lo, 0, v17
	v_mul_f64_e32 v[6:7], s[8:9], v[1:2]
	v_lshrrev_b32_e32 v2, 8, v18
	v_bfe_u32 v17, v18, 20, 11
	s_wait_alu 0xfffd
	v_cndmask_b32_e64 v1, 0, 1, vcc_lo
	v_cmp_eq_u32_e32 vcc_lo, 0x40f, v23
	s_wait_alu 0xfffd
	v_cndmask_b32_e32 v9, v14, v9, vcc_lo
	v_cmp_gt_i32_e32 vcc_lo, 1, v19
	v_and_or_b32 v14, 0xffe, v2, v1
	v_sub_nc_u32_e32 v1, 0x3f1, v17
	v_lshrrev_b32_e32 v2, 16, v10
	s_wait_alu 0xfffd
	v_cndmask_b32_e32 v11, v20, v11, vcc_lo
	v_or_b32_e32 v12, 0x1000, v14
	v_med3_i32 v20, v1, 0, 13
	v_and_or_b32 v9, 0x8000, v2, v9
	ds_load_2addr_b32 v[1:2], v32 offset0:44 offset1:55
	v_and_b32_e32 v10, 7, v11
	v_lshrrev_b32_e32 v11, 2, v11
	v_mul_f64_e32 v[4:5], s[8:9], v[4:5]
	v_lshl_or_b32 v23, v9, 16, v8
	s_delay_alu instid0(VALU_DEP_4) | instskip(SKIP_2) | instid1(VALU_DEP_2)
	v_cmp_lt_i32_e32 vcc_lo, 5, v10
	v_cmp_eq_u32_e64 s0, 3, v10
	v_lshrrev_b32_e32 v10, v20, v12
	s_or_b32 vcc_lo, s0, vcc_lo
	s_delay_alu instid0(VALU_DEP_1) | instskip(SKIP_2) | instid1(VALU_DEP_2)
	v_lshlrev_b32_e32 v8, v20, v10
	s_wait_alu 0xfffe
	v_add_co_ci_u32_e32 v9, vcc_lo, 0, v11, vcc_lo
	v_cmp_ne_u32_e32 vcc_lo, v8, v12
	v_add_nc_u32_e32 v12, 0xfffffc10, v17
	v_and_or_b32 v6, 0x1ff, v7, v6
	s_wait_dscnt 0x0
	v_lshrrev_b32_e32 v13, 16, v1
	v_bfe_u32 v20, v7, 20, 11
	s_wait_alu 0xfffd
	v_cndmask_b32_e64 v8, 0, 1, vcc_lo
	v_cmp_gt_i32_e32 vcc_lo, 31, v19
	v_mul_f16_e32 v17, v40, v13
	s_delay_alu instid0(VALU_DEP_3)
	v_or_b32_e32 v8, v10, v8
	s_wait_alu 0xfffd
	v_cndmask_b32_e32 v9, 0x7c00, v9, vcc_lo
	v_cmp_ne_u32_e32 vcc_lo, 0, v21
	v_lshl_or_b32 v10, v12, 12, v14
	v_fmac_f16_e32 v17, v37, v1
	v_mul_f16_e32 v1, v40, v1
	s_wait_alu 0xfffd
	v_cndmask_b32_e64 v11, 0, 1, vcc_lo
	v_cmp_gt_i32_e32 vcc_lo, 1, v12
	s_delay_alu instid0(VALU_DEP_3) | instskip(NEXT) | instid1(VALU_DEP_3)
	v_fma_f16 v1, v37, v13, -v1
	v_lshl_or_b32 v11, v11, 9, 0x7c00
	s_wait_alu 0xfffd
	v_cndmask_b32_e32 v8, v10, v8, vcc_lo
	v_cmp_ne_u32_e32 vcc_lo, 0, v6
	v_lshrrev_b32_e32 v10, 8, v7
	v_and_or_b32 v4, 0x1ff, v5, v4
	v_lshrrev_b32_e32 v24, 8, v5
	v_and_b32_e32 v21, 7, v8
	s_wait_alu 0xfffd
	v_cndmask_b32_e64 v6, 0, 1, vcc_lo
	v_cmp_eq_u32_e32 vcc_lo, 0x40f, v19
	v_bfe_u32 v25, v5, 20, 11
	v_cvt_f32_f16_e32 v1, v1
	v_cmp_eq_u32_e64 s0, 3, v21
	v_and_or_b32 v6, 0xffe, v10, v6
	v_sub_nc_u32_e32 v10, 0x3f1, v20
	s_wait_alu 0xfffd
	v_cndmask_b32_e32 v19, v9, v11, vcc_lo
	v_cvt_f32_f16_e32 v9, v17
	v_cmp_lt_i32_e32 vcc_lo, 5, v21
	v_lshrrev_b32_e32 v17, 2, v8
	v_or_b32_e32 v11, 0x1000, v6
	v_med3_i32 v10, v10, 0, 13
	v_cvt_f64_f32_e32 v[8:9], v9
	s_or_b32 vcc_lo, s0, vcc_lo
	v_lshrrev_b32_e32 v21, 16, v22
	s_wait_alu 0xfffe
	v_add_co_ci_u32_e32 v17, vcc_lo, 0, v17, vcc_lo
	v_lshrrev_b32_e32 v22, v10, v11
	v_cmp_ne_u32_e32 vcc_lo, 0, v14
	v_add_nc_u32_e32 v20, 0xfffffc10, v20
	v_lshrrev_b32_e32 v5, 16, v5
	s_delay_alu instid0(VALU_DEP_4) | instskip(SKIP_3) | instid1(VALU_DEP_2)
	v_lshlrev_b32_e32 v10, v10, v22
	s_wait_alu 0xfffd
	v_cndmask_b32_e64 v14, 0, 1, vcc_lo
	v_cmp_ne_u32_e32 vcc_lo, 0, v4
	v_lshl_or_b32 v14, v14, 9, 0x7c00
	s_wait_alu 0xfffd
	v_cndmask_b32_e64 v4, 0, 1, vcc_lo
	v_cmp_ne_u32_e32 vcc_lo, v10, v11
	v_sub_nc_u32_e32 v11, 0x3f1, v25
	s_delay_alu instid0(VALU_DEP_3)
	v_and_or_b32 v4, 0xffe, v24, v4
	s_wait_alu 0xfffd
	v_cndmask_b32_e64 v10, 0, 1, vcc_lo
	v_cmp_gt_i32_e32 vcc_lo, 31, v12
	v_med3_i32 v26, v11, 0, 13
	v_or_b32_e32 v24, 0x1000, v4
	s_delay_alu instid0(VALU_DEP_4)
	v_or_b32_e32 v13, v22, v10
	v_lshl_or_b32 v22, v20, 12, v6
	v_cvt_f64_f32_e32 v[10:11], v1
	s_wait_alu 0xfffd
	v_cndmask_b32_e32 v1, 0x7c00, v17, vcc_lo
	v_cmp_gt_i32_e32 vcc_lo, 1, v20
	s_wait_alu 0xfffd
	v_cndmask_b32_e32 v17, v22, v13, vcc_lo
	v_lshrrev_b32_e32 v22, v26, v24
	v_cmp_eq_u32_e32 vcc_lo, 0x40f, v12
	v_mul_f64_e32 v[8:9], s[8:9], v[8:9]
	s_delay_alu instid0(VALU_DEP_3)
	v_lshlrev_b32_e32 v26, v26, v22
	s_wait_alu 0xfffd
	v_cndmask_b32_e32 v1, v1, v14, vcc_lo
	v_lshrrev_b32_e32 v14, 16, v18
	v_and_b32_e32 v18, 7, v17
	v_add_co_u32 v12, vcc_lo, v15, s6
	v_cmp_ne_u32_e64 s0, v26, v24
	s_wait_alu 0xfffd
	v_add_co_ci_u32_e32 v13, vcc_lo, s7, v16, vcc_lo
	v_and_or_b32 v1, 0x8000, v14, v1
	v_cmp_lt_i32_e32 vcc_lo, 5, v18
	s_wait_alu 0xf1ff
	v_cndmask_b32_e64 v14, 0, 1, s0
	v_cmp_eq_u32_e64 s0, 3, v18
	v_lshrrev_b32_e32 v17, 2, v17
	v_add_nc_u32_e32 v16, 0xfffffc10, v25
	v_and_or_b32 v15, 0x8000, v21, v19
	v_or_b32_e32 v14, v22, v14
	s_or_b32 vcc_lo, s0, vcc_lo
	s_wait_alu 0xfffe
	v_add_co_ci_u32_e32 v17, vcc_lo, 0, v17, vcc_lo
	v_cmp_ne_u32_e32 vcc_lo, 0, v6
	v_lshl_or_b32 v18, v16, 12, v4
	v_and_b32_e32 v15, 0xffff, v15
	v_mul_f64_e32 v[10:11], s[8:9], v[10:11]
	s_wait_alu 0xfffd
	v_cndmask_b32_e64 v6, 0, 1, vcc_lo
	v_cmp_gt_i32_e32 vcc_lo, 1, v16
	v_lshl_or_b32 v1, v1, 16, v15
	s_delay_alu instid0(VALU_DEP_3)
	v_lshl_or_b32 v6, v6, 9, 0x7c00
	s_wait_alu 0xfffd
	v_cndmask_b32_e32 v14, v18, v14, vcc_lo
	v_cmp_gt_i32_e32 vcc_lo, 31, v20
	v_lshrrev_b32_e32 v18, 16, v3
	v_and_or_b32 v8, 0x1ff, v9, v8
	v_lshrrev_b32_e32 v15, 8, v9
	v_and_b32_e32 v19, 7, v14
	s_wait_alu 0xfffd
	v_cndmask_b32_e32 v17, 0x7c00, v17, vcc_lo
	v_cmp_eq_u32_e32 vcc_lo, 0x40f, v20
	v_bfe_u32 v20, v9, 20, 11
	v_cmp_eq_u32_e64 s0, 3, v19
	s_wait_alu 0xfffd
	v_cndmask_b32_e32 v17, v17, v6, vcc_lo
	v_mul_f16_e32 v6, v38, v18
	v_cmp_lt_i32_e32 vcc_lo, 5, v19
	v_lshrrev_b32_e32 v19, 16, v7
	v_lshrrev_b32_e32 v7, 2, v14
	s_delay_alu instid0(VALU_DEP_4)
	v_fmac_f16_e32 v6, v35, v3
	s_or_b32 vcc_lo, s0, vcc_lo
	v_mul_f16_e32 v3, v38, v3
	s_wait_alu 0xfffe
	v_add_co_ci_u32_e32 v14, vcc_lo, 0, v7, vcc_lo
	v_cmp_ne_u32_e32 vcc_lo, 0, v8
	v_cvt_f32_f16_e32 v6, v6
	v_fma_f16 v3, v35, v18, -v3
	v_and_or_b32 v17, 0x8000, v19, v17
	s_mul_i32 s0, s5, 0xffffff24
	s_wait_alu 0xfffd
	v_cndmask_b32_e64 v8, 0, 1, vcc_lo
	v_cmp_ne_u32_e32 vcc_lo, 0, v4
	v_cvt_f64_f32_e32 v[6:7], v6
	v_and_or_b32 v10, 0x1ff, v11, v10
	v_cvt_f32_f16_e32 v3, v3
	v_and_or_b32 v21, 0xffe, v15, v8
	s_wait_alu 0xfffd
	v_cndmask_b32_e64 v4, 0, 1, vcc_lo
	v_sub_nc_u32_e32 v8, 0x3f1, v20
	v_cmp_gt_i32_e32 vcc_lo, 31, v16
	v_bfe_u32 v19, v11, 20, 11
	v_or_b32_e32 v18, 0x1000, v21
	v_lshl_or_b32 v4, v4, 9, 0x7c00
	v_med3_i32 v8, v8, 0, 13
	s_wait_alu 0xfffd
	v_cndmask_b32_e32 v14, 0x7c00, v14, vcc_lo
	v_cmp_eq_u32_e32 vcc_lo, 0x40f, v16
	s_wait_alu 0xfffe
	s_sub_co_i32 s3, s0, s4
	v_and_b32_e32 v17, 0xffff, v17
	v_lshrrev_b32_e32 v22, v8, v18
	s_wait_alu 0xfffd
	v_cndmask_b32_e32 v16, v14, v4, vcc_lo
	v_add_co_u32 v14, vcc_lo, v12, s6
	s_wait_alu 0xfffd
	v_add_co_ci_u32_e32 v15, vcc_lo, s7, v13, vcc_lo
	s_delay_alu instid0(VALU_DEP_3)
	v_and_or_b32 v16, 0x8000, v5, v16
	v_lshlrev_b32_e32 v5, v8, v22
	v_cmp_ne_u32_e32 vcc_lo, 0, v10
	v_cvt_f64_f32_e32 v[3:4], v3
	v_lshrrev_b32_e32 v10, 8, v11
	s_clause 0x1
	global_store_b32 v[12:13], v23, off
	global_store_b32 v[14:15], v1, off
	v_lshl_or_b32 v12, v16, 16, v17
	s_wait_alu 0xfffd
	v_cndmask_b32_e64 v8, 0, 1, vcc_lo
	v_cmp_ne_u32_e32 vcc_lo, v5, v18
	v_add_nc_u32_e32 v18, 0xfffffc10, v20
	v_lshrrev_b32_e32 v11, 16, v11
	s_delay_alu instid0(VALU_DEP_4)
	v_and_or_b32 v20, 0xffe, v10, v8
	s_wait_alu 0xfffd
	v_cndmask_b32_e64 v5, 0, 1, vcc_lo
	v_sub_nc_u32_e32 v8, 0x3f1, v19
	v_cmp_gt_i32_e32 vcc_lo, 1, v18
	v_or_b32_e32 v24, 0x1000, v20
	s_delay_alu instid0(VALU_DEP_4)
	v_or_b32_e32 v10, v22, v5
	v_lshl_or_b32 v22, v18, 12, v21
	v_med3_i32 v25, v8, 0, 13
	v_mul_f64_e32 v[5:6], s[8:9], v[6:7]
	v_mad_co_u64_u32 v[7:8], null, 0xffffff24, s4, v[14:15]
	s_wait_alu 0xfffd
	v_cndmask_b32_e32 v10, v22, v10, vcc_lo
	v_lshrrev_b32_e32 v1, v25, v24
	v_lshrrev_b32_e32 v15, 16, v0
	s_delay_alu instid0(VALU_DEP_3) | instskip(NEXT) | instid1(VALU_DEP_3)
	v_and_b32_e32 v13, 7, v10
	v_lshlrev_b32_e32 v14, v25, v1
	v_lshrrev_b32_e32 v10, 2, v10
	s_delay_alu instid0(VALU_DEP_4)
	v_mul_f16_e32 v16, v36, v15
	s_wait_alu 0xfffe
	v_add_nc_u32_e32 v8, s3, v8
	v_cmp_lt_i32_e32 vcc_lo, 5, v13
	v_cmp_eq_u32_e64 s0, 3, v13
	v_cmp_ne_u32_e64 s1, v14, v24
	v_add_nc_u32_e32 v14, 0xfffffc10, v19
	v_fmac_f16_e32 v16, v33, v0
	v_mul_f16_e32 v0, v36, v0
	s_or_b32 vcc_lo, s0, vcc_lo
	v_cndmask_b32_e64 v13, 0, 1, s1
	s_wait_alu 0xfffe
	v_add_co_ci_u32_e32 v10, vcc_lo, 0, v10, vcc_lo
	v_cmp_ne_u32_e32 vcc_lo, 0, v21
	v_mul_f64_e32 v[3:4], s[8:9], v[3:4]
	v_or_b32_e32 v1, v1, v13
	v_lshl_or_b32 v13, v14, 12, v20
	v_cvt_f32_f16_e32 v16, v16
	s_wait_alu 0xfffd
	v_cndmask_b32_e64 v17, 0, 1, vcc_lo
	v_cmp_gt_i32_e32 vcc_lo, 1, v14
	v_fma_f16 v0, v33, v15, -v0
	global_store_b32 v[7:8], v12, off
	s_wait_alu 0xfffd
	v_cndmask_b32_e32 v1, v13, v1, vcc_lo
	v_cmp_gt_i32_e32 vcc_lo, 31, v18
	v_lshl_or_b32 v13, v17, 9, 0x7c00
	v_and_or_b32 v5, 0x1ff, v6, v5
	s_wait_alu 0xfffd
	v_dual_cndmask_b32 v10, 0x7c00, v10 :: v_dual_and_b32 v17, 7, v1
	v_cmp_eq_u32_e32 vcc_lo, 0x40f, v18
	v_lshrrev_b32_e32 v18, 16, v9
	v_cmp_ne_u32_e64 s0, 0, v5
	v_lshrrev_b32_e32 v1, 2, v1
	v_bfe_u32 v19, v6, 20, 11
	s_wait_alu 0xfffd
	v_cndmask_b32_e32 v13, v10, v13, vcc_lo
	v_cvt_f64_f32_e32 v[9:10], v16
	v_cmp_lt_i32_e32 vcc_lo, 5, v17
	s_wait_alu 0xf1ff
	v_cndmask_b32_e64 v5, 0, 1, s0
	v_cmp_eq_u32_e64 s0, 3, v17
	v_lshrrev_b32_e32 v16, 8, v6
	v_and_or_b32 v13, 0x8000, v18, v13
	s_delay_alu instid0(VALU_DEP_3) | instskip(NEXT) | instid1(VALU_DEP_2)
	s_or_b32 vcc_lo, s0, vcc_lo
	v_and_or_b32 v5, 0xffe, v16, v5
	s_wait_alu 0xfffe
	v_add_co_ci_u32_e32 v1, vcc_lo, 0, v1, vcc_lo
	v_cmp_gt_i32_e32 vcc_lo, 31, v14
	v_sub_nc_u32_e32 v16, 0x3f1, v19
	v_or_b32_e32 v17, 0x1000, v5
	v_and_or_b32 v3, 0x1ff, v4, v3
	v_bfe_u32 v22, v4, 20, 11
	s_wait_alu 0xfffd
	v_cndmask_b32_e32 v18, 0x7c00, v1, vcc_lo
	v_cmp_ne_u32_e32 vcc_lo, 0, v20
	v_med3_i32 v16, v16, 0, 13
	v_lshrrev_b32_e32 v21, 8, v4
	v_and_b32_e32 v13, 0xffff, v13
	v_lshrrev_b32_e32 v4, 16, v4
	s_wait_alu 0xfffd
	v_cndmask_b32_e64 v1, 0, 1, vcc_lo
	v_cmp_ne_u32_e32 vcc_lo, 0, v3
	v_lshrrev_b32_e32 v20, v16, v17
	s_delay_alu instid0(VALU_DEP_3) | instskip(SKIP_2) | instid1(VALU_DEP_3)
	v_lshl_or_b32 v23, v1, 9, 0x7c00
	s_wait_alu 0xfffd
	v_cndmask_b32_e64 v3, 0, 1, vcc_lo
	v_lshlrev_b32_e32 v16, v16, v20
	v_sub_nc_u32_e32 v1, 0x3f1, v22
	s_delay_alu instid0(VALU_DEP_3) | instskip(NEXT) | instid1(VALU_DEP_3)
	v_and_or_b32 v3, 0xffe, v21, v3
	v_cmp_ne_u32_e32 vcc_lo, v16, v17
	v_add_nc_u32_e32 v16, 0xfffffc10, v19
	s_delay_alu instid0(VALU_DEP_4)
	v_med3_i32 v19, v1, 0, 13
	v_cvt_f32_f16_e32 v21, v0
	v_mul_f64_e32 v[0:1], s[8:9], v[9:10]
	v_or_b32_e32 v17, 0x1000, v3
	s_wait_alu 0xfffd
	v_cndmask_b32_e64 v15, 0, 1, vcc_lo
	v_cmp_eq_u32_e32 vcc_lo, 0x40f, v14
	v_cvt_f64_f32_e32 v[9:10], v21
	v_lshrrev_b32_e32 v24, v19, v17
	s_delay_alu instid0(VALU_DEP_4)
	v_or_b32_e32 v15, v20, v15
	v_lshl_or_b32 v20, v16, 12, v5
	s_wait_alu 0xfffd
	v_cndmask_b32_e32 v14, v18, v23, vcc_lo
	v_cmp_gt_i32_e32 vcc_lo, 1, v16
	v_lshlrev_b32_e32 v18, v19, v24
	s_delay_alu instid0(VALU_DEP_3) | instskip(SKIP_2) | instid1(VALU_DEP_3)
	v_and_or_b32 v11, 0x8000, v11, v14
	s_wait_alu 0xfffd
	v_cndmask_b32_e32 v15, v20, v15, vcc_lo
	v_cmp_ne_u32_e32 vcc_lo, v18, v17
	v_add_nc_u32_e32 v18, 0xfffffc10, v22
	v_lshl_or_b32 v19, v11, 16, v13
	s_delay_alu instid0(VALU_DEP_4)
	v_and_b32_e32 v14, 7, v15
	s_wait_alu 0xfffd
	v_cndmask_b32_e64 v17, 0, 1, vcc_lo
	v_lshl_or_b32 v12, v18, 12, v3
	v_lshrrev_b32_e32 v13, 16, v2
	v_cmp_gt_i32_e64 s1, 1, v18
	v_cmp_lt_i32_e32 vcc_lo, 5, v14
	v_or_b32_e32 v11, v24, v17
	v_cmp_eq_u32_e64 s0, 3, v14
	v_lshrrev_b32_e32 v14, 2, v15
	s_wait_alu 0xf1ff
	s_delay_alu instid0(VALU_DEP_3)
	v_cndmask_b32_e64 v15, v12, v11, s1
	v_mul_f16_e32 v11, v34, v13
	s_or_b32 vcc_lo, s0, vcc_lo
	s_wait_alu 0xfffe
	v_add_co_ci_u32_e32 v12, vcc_lo, 0, v14, vcc_lo
	v_cmp_ne_u32_e32 vcc_lo, 0, v5
	v_and_or_b32 v0, 0x1ff, v1, v0
	v_fmac_f16_e32 v11, v30, v2
	v_and_b32_e32 v14, 7, v15
	v_bfe_u32 v20, v1, 20, 11
	s_wait_alu 0xfffd
	v_cndmask_b32_e64 v5, 0, 1, vcc_lo
	v_cmp_gt_i32_e32 vcc_lo, 31, v16
	v_cmp_ne_u32_e64 s1, 0, v0
	v_cvt_f32_f16_e32 v11, v11
	v_mul_f64_e32 v[9:10], s[8:9], v[9:10]
	v_lshl_or_b32 v5, v5, 9, 0x7c00
	s_wait_alu 0xfffd
	v_cndmask_b32_e32 v17, 0x7c00, v12, vcc_lo
	s_wait_alu 0xf1ff
	v_cndmask_b32_e64 v0, 0, 1, s1
	v_cmp_eq_u32_e64 s1, 0x40f, v16
	v_cvt_f64_f32_e32 v[11:12], v11
	v_cmp_lt_i32_e32 vcc_lo, 5, v14
	v_cmp_eq_u32_e64 s0, 3, v14
	v_lshrrev_b32_e32 v14, 8, v1
	s_wait_alu 0xf1ff
	v_cndmask_b32_e64 v16, v17, v5, s1
	v_lshrrev_b32_e32 v5, 2, v15
	v_lshrrev_b32_e32 v17, 16, v6
	s_or_b32 vcc_lo, s0, vcc_lo
	v_and_or_b32 v0, 0xffe, v14, v0
	v_sub_nc_u32_e32 v14, 0x3f1, v20
	s_wait_alu 0xfffe
	v_add_co_ci_u32_e32 v5, vcc_lo, 0, v5, vcc_lo
	v_cmp_ne_u32_e32 vcc_lo, 0, v3
	v_or_b32_e32 v15, 0x1000, v0
	v_med3_i32 v14, v14, 0, 13
	v_mul_f16_e32 v2, v34, v2
	v_and_or_b32 v16, 0x8000, v17, v16
	s_wait_alu 0xfffd
	v_cndmask_b32_e64 v3, 0, 1, vcc_lo
	v_cmp_gt_i32_e32 vcc_lo, 31, v18
	v_lshrrev_b32_e32 v22, v14, v15
	v_add_nc_u32_e32 v17, 0xfffffc10, v20
	s_delay_alu instid0(VALU_DEP_4)
	v_lshl_or_b32 v3, v3, 9, 0x7c00
	s_wait_alu 0xfffd
	v_cndmask_b32_e32 v21, 0x7c00, v5, vcc_lo
	v_add_co_u32 v5, vcc_lo, v7, s6
	s_wait_alu 0xfffd
	v_add_co_ci_u32_e32 v6, vcc_lo, s7, v8, vcc_lo
	v_cmp_eq_u32_e32 vcc_lo, 0x40f, v18
	s_wait_alu 0xfffd
	v_dual_cndmask_b32 v14, v21, v3 :: v_dual_lshlrev_b32 v7, v14, v22
	s_delay_alu instid0(VALU_DEP_1)
	v_cmp_ne_u32_e32 vcc_lo, v7, v15
	v_fma_f16 v7, v30, v13, -v2
	v_and_or_b32 v8, 0x1ff, v10, v9
	ds_load_b32 v13, v32 offset:352
	v_bfe_u32 v18, v10, 20, 11
	s_wait_alu 0xfffd
	v_cndmask_b32_e64 v3, 0, 1, vcc_lo
	v_cvt_f32_f16_e32 v7, v7
	v_cmp_ne_u32_e32 vcc_lo, 0, v8
	v_lshl_or_b32 v15, v17, 12, v0
	v_and_or_b32 v4, 0x8000, v4, v14
	v_or_b32_e32 v9, v22, v3
	v_mul_f64_e32 v[2:3], s[8:9], v[11:12]
	s_wait_alu 0xfffd
	v_cndmask_b32_e64 v11, 0, 1, vcc_lo
	v_lshrrev_b32_e32 v12, 8, v10
	v_cmp_gt_i32_e32 vcc_lo, 1, v17
	v_cvt_f64_f32_e32 v[7:8], v7
	v_lshrrev_b32_e32 v10, 16, v10
	s_delay_alu instid0(VALU_DEP_4)
	v_and_or_b32 v20, 0xffe, v12, v11
	v_sub_nc_u32_e32 v11, 0x3f1, v18
	s_wait_alu 0xfffd
	v_dual_cndmask_b32 v9, v15, v9 :: v_dual_and_b32 v12, 0xffff, v16
	v_add_nc_u32_e32 v18, 0xfffffc10, v18
	v_or_b32_e32 v15, 0x1000, v20
	v_med3_i32 v16, v11, 0, 13
	s_delay_alu instid0(VALU_DEP_4)
	v_and_b32_e32 v14, 7, v9
	s_wait_dscnt 0x0
	v_lshrrev_b32_e32 v21, 16, v13
	v_lshrrev_b32_e32 v9, 2, v9
	v_add_co_u32 v11, s1, v5, s6
	v_lshrrev_b32_e32 v22, v16, v15
	v_cmp_lt_i32_e32 vcc_lo, 5, v14
	v_cmp_eq_u32_e64 s0, 3, v14
	v_mul_f16_e32 v14, v31, v21
	v_lshl_or_b32 v4, v4, 16, v12
	v_lshlrev_b32_e32 v16, v16, v22
	s_wait_alu 0xf1ff
	v_add_co_ci_u32_e64 v12, s1, s7, v6, s1
	s_or_b32 vcc_lo, s0, vcc_lo
	v_fmac_f16_e32 v14, v29, v13
	s_wait_alu 0xfffe
	v_add_co_ci_u32_e32 v9, vcc_lo, 0, v9, vcc_lo
	v_cmp_ne_u32_e32 vcc_lo, v16, v15
	v_mul_f16_e32 v13, v31, v13
	v_cvt_f32_f16_e32 v14, v14
	v_cmp_eq_u32_e64 s1, 0x40f, v17
	s_wait_alu 0xfffd
	v_cndmask_b32_e64 v15, 0, 1, vcc_lo
	v_fma_f16 v16, v29, v21, -v13
	v_and_or_b32 v2, 0x1ff, v3, v2
	v_cvt_f64_f32_e32 v[13:14], v14
	v_lshrrev_b32_e32 v23, 8, v3
	v_or_b32_e32 v21, v22, v15
	v_lshl_or_b32 v22, v18, 12, v20
	v_cmp_ne_u32_e32 vcc_lo, 0, v2
	v_cvt_f32_f16_e32 v15, v16
	v_bfe_u32 v24, v3, 20, 11
	v_mul_f64_e32 v[7:8], s[8:9], v[7:8]
	v_lshrrev_b32_e32 v3, 16, v3
	s_wait_alu 0xfffd
	v_cndmask_b32_e64 v2, 0, 1, vcc_lo
	v_cmp_gt_i32_e32 vcc_lo, 1, v18
	v_cvt_f64_f32_e32 v[15:16], v15
	s_delay_alu instid0(VALU_DEP_3)
	v_and_or_b32 v2, 0xffe, v23, v2
	s_wait_alu 0xfffd
	v_cndmask_b32_e32 v21, v22, v21, vcc_lo
	v_cmp_ne_u32_e32 vcc_lo, 0, v0
	v_sub_nc_u32_e32 v22, 0x3f1, v24
	v_add_nc_u32_e32 v24, 0xfffffc10, v24
	v_or_b32_e32 v25, 0x1000, v2
	v_and_b32_e32 v23, 7, v21
	s_wait_alu 0xfffd
	v_cndmask_b32_e64 v0, 0, 1, vcc_lo
	v_cmp_gt_i32_e32 vcc_lo, 31, v17
	v_med3_i32 v22, v22, 0, 13
	v_lshrrev_b32_e32 v17, 16, v1
	v_cmp_eq_u32_e64 s0, 3, v23
	v_lshl_or_b32 v0, v0, 9, 0x7c00
	s_wait_alu 0xfffd
	v_cndmask_b32_e32 v9, 0x7c00, v9, vcc_lo
	v_cmp_lt_i32_e32 vcc_lo, 5, v23
	v_lshrrev_b32_e32 v23, v22, v25
	s_wait_alu 0xf1ff
	s_delay_alu instid0(VALU_DEP_3) | instskip(SKIP_3) | instid1(VALU_DEP_3)
	v_cndmask_b32_e64 v9, v9, v0, s1
	v_lshrrev_b32_e32 v0, 2, v21
	s_or_b32 vcc_lo, s0, vcc_lo
	v_lshlrev_b32_e32 v1, v22, v23
	v_and_or_b32 v9, 0x8000, v17, v9
	s_wait_alu 0xfffe
	v_add_co_ci_u32_e32 v21, vcc_lo, 0, v0, vcc_lo
	v_cmp_ne_u32_e32 vcc_lo, 0, v20
	s_wait_alu 0xfffd
	v_cndmask_b32_e64 v20, 0, 1, vcc_lo
	v_cmp_ne_u32_e32 vcc_lo, v1, v25
	v_mul_f64_e32 v[0:1], s[8:9], v[13:14]
	v_and_or_b32 v7, 0x1ff, v8, v7
	s_delay_alu instid0(VALU_DEP_4) | instskip(SKIP_3) | instid1(VALU_DEP_2)
	v_lshl_or_b32 v14, v20, 9, 0x7c00
	s_wait_alu 0xfffd
	v_cndmask_b32_e64 v22, 0, 1, vcc_lo
	v_cmp_gt_i32_e32 vcc_lo, 31, v18
	v_or_b32_e32 v20, v23, v22
	s_wait_alu 0xfffd
	v_cndmask_b32_e32 v13, 0x7c00, v21, vcc_lo
	v_cmp_eq_u32_e32 vcc_lo, 0x40f, v18
	v_lshl_or_b32 v21, v24, 12, v2
	s_wait_alu 0xfffd
	s_delay_alu instid0(VALU_DEP_3) | instskip(SKIP_3) | instid1(VALU_DEP_4)
	v_cndmask_b32_e32 v18, v13, v14, vcc_lo
	v_cmp_gt_i32_e32 vcc_lo, 1, v24
	v_mul_f64_e32 v[13:14], s[8:9], v[15:16]
	v_lshrrev_b32_e32 v16, 8, v8
	v_and_or_b32 v18, 0x8000, v10, v18
	s_wait_alu 0xfffd
	v_cndmask_b32_e32 v15, v21, v20, vcc_lo
	v_cmp_ne_u32_e32 vcc_lo, 0, v7
	v_bfe_u32 v20, v8, 20, 11
	v_lshrrev_b32_e32 v8, 16, v8
	s_delay_alu instid0(VALU_DEP_4) | instskip(SKIP_3) | instid1(VALU_DEP_3)
	v_and_b32_e32 v17, 7, v15
	s_wait_alu 0xfffd
	v_cndmask_b32_e64 v7, 0, 1, vcc_lo
	v_lshrrev_b32_e32 v15, 2, v15
	v_cmp_lt_i32_e32 vcc_lo, 5, v17
	s_delay_alu instid0(VALU_DEP_3) | instskip(SKIP_3) | instid1(VALU_DEP_4)
	v_and_or_b32 v7, 0xffe, v16, v7
	v_sub_nc_u32_e32 v16, 0x3f1, v20
	v_cmp_eq_u32_e64 s0, 3, v17
	v_add_nc_u32_e32 v20, 0xfffffc10, v20
	v_or_b32_e32 v22, 0x1000, v7
	s_delay_alu instid0(VALU_DEP_4) | instskip(NEXT) | instid1(VALU_DEP_4)
	v_med3_i32 v16, v16, 0, 13
	s_or_b32 vcc_lo, s0, vcc_lo
	v_and_or_b32 v0, 0x1ff, v1, v0
	s_wait_alu 0xfffe
	v_add_co_ci_u32_e32 v15, vcc_lo, 0, v15, vcc_lo
	v_lshrrev_b32_e32 v17, v16, v22
	v_cmp_ne_u32_e32 vcc_lo, 0, v2
	v_bfe_u32 v23, v1, 20, 11
	s_delay_alu instid0(VALU_DEP_3) | instskip(SKIP_3) | instid1(VALU_DEP_2)
	v_lshlrev_b32_e32 v16, v16, v17
	s_wait_alu 0xfffd
	v_cndmask_b32_e64 v2, 0, 1, vcc_lo
	v_cmp_gt_i32_e32 vcc_lo, 31, v24
	v_lshl_or_b32 v2, v2, 9, 0x7c00
	s_wait_alu 0xfffd
	v_cndmask_b32_e32 v15, 0x7c00, v15, vcc_lo
	v_cmp_ne_u32_e32 vcc_lo, v16, v22
	v_and_or_b32 v13, 0x1ff, v14, v13
	v_lshrrev_b32_e32 v22, 8, v1
	v_lshrrev_b32_e32 v25, 8, v14
	v_bfe_u32 v26, v14, 20, 11
	s_wait_alu 0xfffd
	v_cndmask_b32_e64 v16, 0, 1, vcc_lo
	v_cmp_ne_u32_e32 vcc_lo, 0, v0
	v_lshrrev_b32_e32 v1, 16, v1
	s_delay_alu instid0(VALU_DEP_3) | instskip(SKIP_4) | instid1(VALU_DEP_3)
	v_or_b32_e32 v16, v17, v16
	s_wait_alu 0xfffd
	v_cndmask_b32_e64 v0, 0, 1, vcc_lo
	v_cmp_ne_u32_e32 vcc_lo, 0, v13
	v_lshl_or_b32 v17, v20, 12, v7
	v_and_or_b32 v0, 0xffe, v22, v0
	v_sub_nc_u32_e32 v22, 0x3f1, v23
	s_wait_alu 0xfffd
	v_cndmask_b32_e64 v13, 0, 1, vcc_lo
	v_cmp_gt_i32_e32 vcc_lo, 1, v20
	v_and_b32_e32 v21, 0xffff, v9
	v_mad_co_u64_u32 v[9:10], null, 0xffffff24, s4, v[11:12]
	v_med3_i32 v22, v22, 0, 13
	s_wait_alu 0xfffd
	v_cndmask_b32_e32 v16, v17, v16, vcc_lo
	v_or_b32_e32 v17, 0x1000, v0
	v_and_or_b32 v13, 0xffe, v25, v13
	v_sub_nc_u32_e32 v25, 0x3f1, v26
	v_cmp_eq_u32_e32 vcc_lo, 0x40f, v24
	v_and_b32_e32 v24, 7, v16
	v_lshrrev_b32_e32 v16, 2, v16
	v_or_b32_e32 v27, 0x1000, v13
	v_med3_i32 v25, v25, 0, 13
	s_wait_alu 0xfffd
	v_cndmask_b32_e32 v2, v15, v2, vcc_lo
	v_lshrrev_b32_e32 v15, v22, v17
	v_cmp_lt_i32_e32 vcc_lo, 5, v24
	v_cmp_eq_u32_e64 s0, 3, v24
	v_lshrrev_b32_e32 v24, v25, v27
	v_and_or_b32 v2, 0x8000, v3, v2
	v_lshlrev_b32_e32 v22, v22, v15
	v_add_nc_u32_e32 v10, s3, v10
	s_or_b32 vcc_lo, s0, vcc_lo
	s_wait_alu 0xfffe
	v_add_co_ci_u32_e32 v16, vcc_lo, 0, v16, vcc_lo
	v_cmp_ne_u32_e64 s1, v22, v17
	v_add_nc_u32_e32 v22, 0xfffffc10, v23
	v_lshlrev_b32_e32 v23, v25, v24
	v_add_nc_u32_e32 v25, 0xfffffc10, v26
	v_and_b32_e32 v2, 0xffff, v2
	s_wait_alu 0xf1ff
	v_cndmask_b32_e64 v17, 0, 1, s1
	v_cmp_ne_u32_e32 vcc_lo, v23, v27
	s_delay_alu instid0(VALU_DEP_2)
	v_or_b32_e32 v15, v15, v17
	v_lshl_or_b32 v17, v22, 12, v0
	s_wait_alu 0xfffd
	v_cndmask_b32_e64 v23, 0, 1, vcc_lo
	v_cmp_ne_u32_e32 vcc_lo, 0, v7
	s_wait_alu 0xfffd
	v_cndmask_b32_e64 v7, 0, 1, vcc_lo
	v_cmp_gt_i32_e32 vcc_lo, 1, v22
	s_delay_alu instid0(VALU_DEP_2)
	v_lshl_or_b32 v7, v7, 9, 0x7c00
	s_wait_alu 0xfffd
	v_cndmask_b32_e32 v15, v17, v15, vcc_lo
	v_cmp_gt_i32_e32 vcc_lo, 31, v20
	v_or_b32_e32 v17, v24, v23
	v_lshl_or_b32 v23, v25, 12, v13
	s_delay_alu instid0(VALU_DEP_4) | instskip(SKIP_3) | instid1(VALU_DEP_3)
	v_and_b32_e32 v24, 7, v15
	s_wait_alu 0xfffd
	v_cndmask_b32_e32 v16, 0x7c00, v16, vcc_lo
	v_cmp_gt_i32_e32 vcc_lo, 1, v25
	v_cmp_eq_u32_e64 s0, 3, v24
	s_wait_alu 0xfffd
	v_cndmask_b32_e32 v17, v23, v17, vcc_lo
	v_cmp_eq_u32_e32 vcc_lo, 0x40f, v20
	s_delay_alu instid0(VALU_DEP_2) | instskip(SKIP_3) | instid1(VALU_DEP_3)
	v_and_b32_e32 v3, 7, v17
	s_wait_alu 0xfffd
	v_cndmask_b32_e32 v7, v16, v7, vcc_lo
	v_cmp_lt_i32_e32 vcc_lo, 5, v24
	v_cmp_lt_i32_e64 s1, 5, v3
	s_delay_alu instid0(VALU_DEP_3) | instskip(SKIP_3) | instid1(VALU_DEP_3)
	v_and_or_b32 v7, 0x8000, v8, v7
	v_lshrrev_b32_e32 v8, 2, v15
	s_or_b32 vcc_lo, s0, vcc_lo
	v_cmp_eq_u32_e64 s2, 3, v3
	v_lshl_or_b32 v7, v7, 16, v2
	s_wait_alu 0xfffe
	v_add_co_ci_u32_e32 v3, vcc_lo, 0, v8, vcc_lo
	v_cmp_ne_u32_e32 vcc_lo, 0, v0
	v_lshrrev_b32_e32 v8, 2, v17
	s_wait_alu 0xfffd
	v_cndmask_b32_e64 v0, 0, 1, vcc_lo
	s_or_b32 vcc_lo, s2, s1
	s_wait_alu 0xfffe
	v_add_co_ci_u32_e32 v8, vcc_lo, 0, v8, vcc_lo
	v_cmp_ne_u32_e32 vcc_lo, 0, v13
	v_lshl_or_b32 v0, v0, 9, 0x7c00
	s_wait_alu 0xfffd
	v_cndmask_b32_e64 v13, 0, 1, vcc_lo
	v_cmp_gt_i32_e32 vcc_lo, 31, v22
	s_delay_alu instid0(VALU_DEP_2)
	v_lshl_or_b32 v13, v13, 9, 0x7c00
	s_wait_alu 0xfffd
	v_cndmask_b32_e32 v3, 0x7c00, v3, vcc_lo
	v_cmp_gt_i32_e32 vcc_lo, 31, v25
	s_wait_alu 0xfffd
	v_cndmask_b32_e32 v8, 0x7c00, v8, vcc_lo
	v_cmp_eq_u32_e32 vcc_lo, 0x40f, v22
	s_wait_alu 0xfffd
	v_cndmask_b32_e32 v0, v3, v0, vcc_lo
	v_cmp_eq_u32_e32 vcc_lo, 0x40f, v25
	s_delay_alu instid0(VALU_DEP_2) | instskip(SKIP_4) | instid1(VALU_DEP_2)
	v_and_or_b32 v0, 0x8000, v1, v0
	s_wait_alu 0xfffd
	v_cndmask_b32_e32 v3, v8, v13, vcc_lo
	v_lshrrev_b32_e32 v8, 16, v14
	v_lshl_or_b32 v13, v18, 16, v21
	v_and_or_b32 v2, 0x8000, v8, v3
	v_and_b32_e32 v3, 0xffff, v0
	v_add_co_u32 v0, vcc_lo, v9, s6
	s_wait_alu 0xfffd
	v_add_co_ci_u32_e32 v1, vcc_lo, s7, v10, vcc_lo
	s_delay_alu instid0(VALU_DEP_3) | instskip(NEXT) | instid1(VALU_DEP_3)
	v_lshl_or_b32 v8, v2, 16, v3
	v_add_co_u32 v2, vcc_lo, v0, s6
	s_wait_alu 0xfffd
	s_delay_alu instid0(VALU_DEP_3)
	v_add_co_ci_u32_e32 v3, vcc_lo, s7, v1, vcc_lo
	global_store_b32 v[5:6], v19, off
	global_store_b32 v[11:12], v4, off
	;; [unrolled: 1-line block ×5, first 2 shown]
.LBB0_10:
	s_nop 0
	s_sendmsg sendmsg(MSG_DEALLOC_VGPRS)
	s_endpgm
	.section	.rodata,"a",@progbits
	.p2align	6, 0x0
	.amdhsa_kernel bluestein_single_back_len99_dim1_half_op_CI_CI
		.amdhsa_group_segment_fixed_size 7920
		.amdhsa_private_segment_fixed_size 0
		.amdhsa_kernarg_size 104
		.amdhsa_user_sgpr_count 2
		.amdhsa_user_sgpr_dispatch_ptr 0
		.amdhsa_user_sgpr_queue_ptr 0
		.amdhsa_user_sgpr_kernarg_segment_ptr 1
		.amdhsa_user_sgpr_dispatch_id 0
		.amdhsa_user_sgpr_private_segment_size 0
		.amdhsa_wavefront_size32 1
		.amdhsa_uses_dynamic_stack 0
		.amdhsa_enable_private_segment 0
		.amdhsa_system_sgpr_workgroup_id_x 1
		.amdhsa_system_sgpr_workgroup_id_y 0
		.amdhsa_system_sgpr_workgroup_id_z 0
		.amdhsa_system_sgpr_workgroup_info 0
		.amdhsa_system_vgpr_workitem_id 0
		.amdhsa_next_free_vgpr 177
		.amdhsa_next_free_sgpr 20
		.amdhsa_reserve_vcc 1
		.amdhsa_float_round_mode_32 0
		.amdhsa_float_round_mode_16_64 0
		.amdhsa_float_denorm_mode_32 3
		.amdhsa_float_denorm_mode_16_64 3
		.amdhsa_fp16_overflow 0
		.amdhsa_workgroup_processor_mode 1
		.amdhsa_memory_ordered 1
		.amdhsa_forward_progress 0
		.amdhsa_round_robin_scheduling 0
		.amdhsa_exception_fp_ieee_invalid_op 0
		.amdhsa_exception_fp_denorm_src 0
		.amdhsa_exception_fp_ieee_div_zero 0
		.amdhsa_exception_fp_ieee_overflow 0
		.amdhsa_exception_fp_ieee_underflow 0
		.amdhsa_exception_fp_ieee_inexact 0
		.amdhsa_exception_int_div_zero 0
	.end_amdhsa_kernel
	.text
.Lfunc_end0:
	.size	bluestein_single_back_len99_dim1_half_op_CI_CI, .Lfunc_end0-bluestein_single_back_len99_dim1_half_op_CI_CI
                                        ; -- End function
	.section	.AMDGPU.csdata,"",@progbits
; Kernel info:
; codeLenInByte = 15636
; NumSgprs: 22
; NumVgprs: 177
; ScratchSize: 0
; MemoryBound: 0
; FloatMode: 240
; IeeeMode: 1
; LDSByteSize: 7920 bytes/workgroup (compile time only)
; SGPRBlocks: 2
; VGPRBlocks: 22
; NumSGPRsForWavesPerEU: 22
; NumVGPRsForWavesPerEU: 177
; Occupancy: 8
; WaveLimiterHint : 1
; COMPUTE_PGM_RSRC2:SCRATCH_EN: 0
; COMPUTE_PGM_RSRC2:USER_SGPR: 2
; COMPUTE_PGM_RSRC2:TRAP_HANDLER: 0
; COMPUTE_PGM_RSRC2:TGID_X_EN: 1
; COMPUTE_PGM_RSRC2:TGID_Y_EN: 0
; COMPUTE_PGM_RSRC2:TGID_Z_EN: 0
; COMPUTE_PGM_RSRC2:TIDIG_COMP_CNT: 0
	.text
	.p2alignl 7, 3214868480
	.fill 96, 4, 3214868480
	.type	__hip_cuid_eead0d3fcb52b4e7,@object ; @__hip_cuid_eead0d3fcb52b4e7
	.section	.bss,"aw",@nobits
	.globl	__hip_cuid_eead0d3fcb52b4e7
__hip_cuid_eead0d3fcb52b4e7:
	.byte	0                               ; 0x0
	.size	__hip_cuid_eead0d3fcb52b4e7, 1

	.ident	"AMD clang version 19.0.0git (https://github.com/RadeonOpenCompute/llvm-project roc-6.4.0 25133 c7fe45cf4b819c5991fe208aaa96edf142730f1d)"
	.section	".note.GNU-stack","",@progbits
	.addrsig
	.addrsig_sym __hip_cuid_eead0d3fcb52b4e7
	.amdgpu_metadata
---
amdhsa.kernels:
  - .args:
      - .actual_access:  read_only
        .address_space:  global
        .offset:         0
        .size:           8
        .value_kind:     global_buffer
      - .actual_access:  read_only
        .address_space:  global
        .offset:         8
        .size:           8
        .value_kind:     global_buffer
      - .actual_access:  read_only
        .address_space:  global
        .offset:         16
        .size:           8
        .value_kind:     global_buffer
      - .actual_access:  read_only
        .address_space:  global
        .offset:         24
        .size:           8
        .value_kind:     global_buffer
      - .actual_access:  read_only
        .address_space:  global
        .offset:         32
        .size:           8
        .value_kind:     global_buffer
      - .offset:         40
        .size:           8
        .value_kind:     by_value
      - .address_space:  global
        .offset:         48
        .size:           8
        .value_kind:     global_buffer
      - .address_space:  global
        .offset:         56
        .size:           8
        .value_kind:     global_buffer
      - .address_space:  global
        .offset:         64
        .size:           8
        .value_kind:     global_buffer
      - .address_space:  global
        .offset:         72
        .size:           8
        .value_kind:     global_buffer
      - .offset:         80
        .size:           4
        .value_kind:     by_value
      - .address_space:  global
        .offset:         88
        .size:           8
        .value_kind:     global_buffer
      - .address_space:  global
        .offset:         96
        .size:           8
        .value_kind:     global_buffer
    .group_segment_fixed_size: 7920
    .kernarg_segment_align: 8
    .kernarg_segment_size: 104
    .language:       OpenCL C
    .language_version:
      - 2
      - 0
    .max_flat_workgroup_size: 220
    .name:           bluestein_single_back_len99_dim1_half_op_CI_CI
    .private_segment_fixed_size: 0
    .sgpr_count:     22
    .sgpr_spill_count: 0
    .symbol:         bluestein_single_back_len99_dim1_half_op_CI_CI.kd
    .uniform_work_group_size: 1
    .uses_dynamic_stack: false
    .vgpr_count:     177
    .vgpr_spill_count: 0
    .wavefront_size: 32
    .workgroup_processor_mode: 1
amdhsa.target:   amdgcn-amd-amdhsa--gfx1201
amdhsa.version:
  - 1
  - 2
...

	.end_amdgpu_metadata
